;; amdgpu-corpus repo=ROCm/rocFFT kind=compiled arch=gfx1030 opt=O3
	.text
	.amdgcn_target "amdgcn-amd-amdhsa--gfx1030"
	.amdhsa_code_object_version 6
	.protected	bluestein_single_fwd_len1404_dim1_half_op_CI_CI ; -- Begin function bluestein_single_fwd_len1404_dim1_half_op_CI_CI
	.globl	bluestein_single_fwd_len1404_dim1_half_op_CI_CI
	.p2align	8
	.type	bluestein_single_fwd_len1404_dim1_half_op_CI_CI,@function
bluestein_single_fwd_len1404_dim1_half_op_CI_CI: ; @bluestein_single_fwd_len1404_dim1_half_op_CI_CI
; %bb.0:
	s_load_dwordx4 s[8:11], s[4:5], 0x28
	v_mul_u32_u24_e32 v1, 0x231, v0
	v_mov_b32_e32 v13, 0
	s_mov_b32 s0, exec_lo
	v_lshrrev_b32_e32 v1, 16, v1
	v_add_nc_u32_e32 v12, s6, v1
	s_waitcnt lgkmcnt(0)
	v_cmpx_gt_u64_e64 s[8:9], v[12:13]
	s_cbranch_execz .LBB0_10
; %bb.1:
	s_clause 0x1
	s_load_dwordx4 s[0:3], s[4:5], 0x18
	s_load_dwordx4 s[12:15], s[4:5], 0x0
	v_mul_lo_u16 v1, 0x75, v1
                                        ; implicit-def: $vgpr104
                                        ; implicit-def: $vgpr105
	v_sub_nc_u16 v0, v0, v1
	v_and_b32_e32 v50, 0xffff, v0
	v_lshlrev_b32_e32 v54, 2, v50
	v_add_co_u32 v73, null, 0x15f, v50
	s_waitcnt lgkmcnt(0)
	s_load_dwordx4 s[16:19], s[0:1], 0x0
	v_add_nc_u32_e32 v75, 0x249, v50
	v_add_co_u32 v10, s0, s12, v54
	v_add_co_ci_u32_e64 v11, null, s13, 0, s0
	v_and_b32_e32 v29, 1, v73
	v_lshlrev_b32_e32 v26, 1, v50
	v_lshlrev_b32_e32 v61, 3, v50
	;; [unrolled: 1-line block ×5, first 2 shown]
	v_add_nc_u32_e32 v76, 0x3a8, v26
	s_waitcnt lgkmcnt(0)
	v_mad_u64_u32 v[1:2], null, s18, v12, 0
	v_mad_u64_u32 v[3:4], null, s16, v50, 0
	s_mul_i32 s0, s17, 0xaf8
	s_mul_hi_u32 s1, s16, 0xaf8
	s_mul_i32 s6, s16, 0xaf8
	s_add_i32 s1, s1, s0
	s_mul_hi_u32 s8, s16, 0xfffff6dc
	s_mul_i32 s7, s17, 0xfffff6dc
	v_mad_u64_u32 v[5:6], null, s19, v12, v[2:3]
	v_add_co_u32 v6, vcc_lo, 0x800, v10
	v_add_co_ci_u32_e32 v7, vcc_lo, 0, v11, vcc_lo
	s_clause 0x1
	global_load_dword v53, v54, s[12:13]
	global_load_dword v52, v[6:7], off offset:760
	v_mad_u64_u32 v[8:9], null, s17, v50, v[4:5]
	v_mov_b32_e32 v2, v5
	s_mul_i32 s9, s16, 0xfffff6dc
	s_sub_i32 s0, s8, s16
	v_add_nc_u32_e32 v5, 0xa00, v54
	s_add_i32 s0, s0, s7
	v_lshlrev_b64 v[1:2], 2, v[1:2]
	v_mov_b32_e32 v4, v8
	v_add_co_u32 v1, vcc_lo, s10, v1
	v_lshlrev_b64 v[3:4], 2, v[3:4]
	v_add_co_ci_u32_e32 v2, vcc_lo, s11, v2, vcc_lo
	v_add_co_u32 v1, vcc_lo, v1, v3
	v_add_co_ci_u32_e32 v2, vcc_lo, v2, v4, vcc_lo
	v_add_co_u32 v3, vcc_lo, v1, s6
	v_add_co_ci_u32_e32 v4, vcc_lo, s1, v2, vcc_lo
	s_clause 0x1
	global_load_dword v13, v[1:2], off
	global_load_dword v14, v[3:4], off
	v_add_co_u32 v1, vcc_lo, v3, s9
	v_add_co_ci_u32_e32 v2, vcc_lo, s0, v4, vcc_lo
	v_add_co_u32 v3, vcc_lo, v1, s6
	v_add_co_ci_u32_e32 v4, vcc_lo, s1, v2, vcc_lo
	global_load_dword v15, v[1:2], off
	v_add_co_u32 v1, vcc_lo, v3, s9
	v_add_co_ci_u32_e32 v2, vcc_lo, s0, v4, vcc_lo
	s_clause 0x4
	global_load_dword v51, v54, s[12:13] offset:468
	global_load_dword v48, v54, s[12:13] offset:936
	global_load_dword v46, v54, s[12:13] offset:1404
	global_load_dword v44, v54, s[12:13] offset:1872
	global_load_dword v49, v[6:7], off offset:1228
	s_clause 0x1
	global_load_dword v16, v[3:4], off
	global_load_dword v17, v[1:2], off
	v_add_co_u32 v1, vcc_lo, v1, s6
	v_add_co_ci_u32_e32 v2, vcc_lo, s1, v2, vcc_lo
	v_add_co_u32 v3, vcc_lo, 0x1000, v10
	v_add_co_ci_u32_e32 v4, vcc_lo, 0, v11, vcc_lo
	global_load_dword v47, v[6:7], off offset:1696
	global_load_dword v10, v[1:2], off
	v_add_co_u32 v1, vcc_lo, v1, s9
	v_add_co_ci_u32_e32 v2, vcc_lo, s0, v2, vcc_lo
	global_load_dword v45, v[3:4], off offset:116
	v_add_co_u32 v8, vcc_lo, v1, s6
	v_add_co_ci_u32_e32 v9, vcc_lo, s1, v2, vcc_lo
	global_load_dword v11, v[1:2], off
	v_add_co_u32 v1, vcc_lo, v8, s9
	v_add_co_ci_u32_e32 v2, vcc_lo, s0, v9, vcc_lo
	global_load_dword v18, v[8:9], off
	;; [unrolled: 3-line block ×4, first 2 shown]
	v_add_co_u32 v8, vcc_lo, v1, s6
	v_add_co_ci_u32_e32 v9, vcc_lo, s1, v2, vcc_lo
	global_load_dword v43, v[3:4], off offset:584
	global_load_dword v21, v[1:2], off
	global_load_dword v8, v[8:9], off
	s_clause 0x1
	global_load_dword v42, v[6:7], off offset:292
	global_load_dword v41, v[3:4], off offset:1052
	v_add_co_u32 v34, s0, 0x75, v50
	v_add_co_ci_u32_e64 v35, null, 0, 0, s0
	v_add_co_u32 v33, s0, 0xea, v50
	v_add_nc_u32_e32 v2, 0xc00, v54
	v_add_co_ci_u32_e64 v1, null, 0, 0, s0
	v_add_nc_u32_e32 v4, 0x200, v54
	v_add_nc_u32_e32 v1, 0x1000, v54
	;; [unrolled: 1-line block ×4, first 2 shown]
	s_load_dwordx4 s[8:11], s[2:3], 0x0
	v_add_nc_u32_e32 v6, 0x1200, v54
	v_lshlrev_b32_e32 v60, 3, v34
	v_lshlrev_b32_e32 v59, 3, v33
	;; [unrolled: 1-line block ×3, first 2 shown]
	v_cmp_gt_u16_e32 vcc_lo, 0x6c, v0
	s_load_dwordx2 s[2:3], s[4:5], 0x38
	s_waitcnt vmcnt(21)
	v_lshrrev_b32_e32 v9, 16, v13
	v_mul_f16_sdwa v22, v53, v13 dst_sel:DWORD dst_unused:UNUSED_PAD src0_sel:WORD_1 src1_sel:DWORD
	s_waitcnt vmcnt(20)
	v_lshrrev_b32_e32 v24, 16, v14
	v_mul_f16_sdwa v25, v52, v14 dst_sel:DWORD dst_unused:UNUSED_PAD src0_sel:WORD_1 src1_sel:DWORD
	v_mul_f16_sdwa v23, v53, v9 dst_sel:DWORD dst_unused:UNUSED_PAD src0_sel:WORD_1 src1_sel:DWORD
	v_fma_f16 v9, v53, v9, -v22
	v_fmac_f16_e32 v23, v53, v13
	v_mul_f16_sdwa v13, v52, v24 dst_sel:DWORD dst_unused:UNUSED_PAD src0_sel:WORD_1 src1_sel:DWORD
	v_fma_f16 v24, v52, v24, -v25
	s_waitcnt vmcnt(19)
	v_lshrrev_b32_e32 v22, 16, v15
	s_waitcnt vmcnt(18)
	v_mul_f16_sdwa v25, v51, v15 dst_sel:DWORD dst_unused:UNUSED_PAD src0_sel:WORD_1 src1_sel:DWORD
	v_pack_b32_f16 v9, v23, v9
	v_fmac_f16_e32 v13, v52, v14
	s_waitcnt vmcnt(13)
	v_lshrrev_b32_e32 v23, 16, v16
	v_mul_f16_sdwa v14, v51, v22 dst_sel:DWORD dst_unused:UNUSED_PAD src0_sel:WORD_1 src1_sel:DWORD
	v_mul_f16_sdwa v27, v49, v16 dst_sel:DWORD dst_unused:UNUSED_PAD src0_sel:WORD_1 src1_sel:DWORD
	v_fma_f16 v22, v51, v22, -v25
	v_pack_b32_f16 v13, v13, v24
	s_waitcnt vmcnt(12)
	v_lshrrev_b32_e32 v24, 16, v17
	v_fmac_f16_e32 v14, v51, v15
	v_mul_f16_sdwa v15, v49, v23 dst_sel:DWORD dst_unused:UNUSED_PAD src0_sel:WORD_1 src1_sel:DWORD
	v_fma_f16 v23, v49, v23, -v27
	ds_write_b32 v54, v13 offset:2808
	v_mul_f16_sdwa v25, v48, v17 dst_sel:DWORD dst_unused:UNUSED_PAD src0_sel:WORD_1 src1_sel:DWORD
	v_pack_b32_f16 v13, v14, v22
	v_fmac_f16_e32 v15, v49, v16
	s_waitcnt vmcnt(10)
	v_lshrrev_b32_e32 v22, 16, v10
	v_mul_f16_sdwa v14, v48, v24 dst_sel:DWORD dst_unused:UNUSED_PAD src0_sel:WORD_1 src1_sel:DWORD
	v_fma_f16 v16, v48, v24, -v25
	ds_write2_b32 v54, v9, v13 offset1:117
	v_pack_b32_f16 v9, v15, v23
	v_mul_f16_sdwa v13, v47, v22 dst_sel:DWORD dst_unused:UNUSED_PAD src0_sel:WORD_1 src1_sel:DWORD
	v_mul_f16_sdwa v24, v47, v10 dst_sel:DWORD dst_unused:UNUSED_PAD src0_sel:WORD_1 src1_sel:DWORD
	s_waitcnt vmcnt(8)
	v_lshrrev_b32_e32 v15, 16, v11
	v_fmac_f16_e32 v14, v48, v17
	v_mul_f16_sdwa v17, v46, v11 dst_sel:DWORD dst_unused:UNUSED_PAD src0_sel:WORD_1 src1_sel:DWORD
	v_fmac_f16_e32 v13, v47, v10
	v_fma_f16 v22, v47, v22, -v24
	v_mul_f16_sdwa v10, v46, v15 dst_sel:DWORD dst_unused:UNUSED_PAD src0_sel:WORD_1 src1_sel:DWORD
	v_pack_b32_f16 v14, v14, v16
	s_waitcnt vmcnt(7)
	v_lshrrev_b32_e32 v16, 16, v18
	v_fma_f16 v15, v46, v15, -v17
	v_mul_f16_sdwa v17, v45, v18 dst_sel:DWORD dst_unused:UNUSED_PAD src0_sel:WORD_1 src1_sel:DWORD
	v_fmac_f16_e32 v10, v46, v11
	s_waitcnt vmcnt(6)
	v_lshrrev_b32_e32 v11, 16, v19
	v_pack_b32_f16 v13, v13, v22
	v_mul_f16_sdwa v22, v45, v16 dst_sel:DWORD dst_unused:UNUSED_PAD src0_sel:WORD_1 src1_sel:DWORD
	v_fma_f16 v16, v45, v16, -v17
	v_mul_f16_sdwa v17, v44, v19 dst_sel:DWORD dst_unused:UNUSED_PAD src0_sel:WORD_1 src1_sel:DWORD
	v_pack_b32_f16 v10, v10, v15
	v_mul_f16_sdwa v15, v44, v11 dst_sel:DWORD dst_unused:UNUSED_PAD src0_sel:WORD_1 src1_sel:DWORD
	v_fmac_f16_e32 v22, v45, v18
	s_waitcnt vmcnt(5)
	v_lshrrev_b32_e32 v18, 16, v20
	v_fma_f16 v11, v44, v11, -v17
	s_waitcnt vmcnt(4)
	v_mul_f16_sdwa v17, v43, v20 dst_sel:DWORD dst_unused:UNUSED_PAD src0_sel:WORD_1 src1_sel:DWORD
	v_fmac_f16_e32 v15, v44, v19
	s_waitcnt vmcnt(3)
	v_lshrrev_b32_e32 v19, 16, v21
	s_waitcnt vmcnt(2)
	v_lshrrev_b32_e32 v24, 16, v8
	v_mul_f16_sdwa v23, v43, v18 dst_sel:DWORD dst_unused:UNUSED_PAD src0_sel:WORD_1 src1_sel:DWORD
	v_fma_f16 v17, v43, v18, -v17
	s_waitcnt vmcnt(1)
	v_mul_f16_sdwa v18, v42, v21 dst_sel:DWORD dst_unused:UNUSED_PAD src0_sel:WORD_1 src1_sel:DWORD
	v_mul_f16_sdwa v25, v42, v19 dst_sel:DWORD dst_unused:UNUSED_PAD src0_sel:WORD_1 src1_sel:DWORD
	s_waitcnt vmcnt(0)
	v_mul_f16_sdwa v27, v41, v8 dst_sel:DWORD dst_unused:UNUSED_PAD src0_sel:WORD_1 src1_sel:DWORD
	v_mul_f16_sdwa v28, v41, v24 dst_sel:DWORD dst_unused:UNUSED_PAD src0_sel:WORD_1 src1_sel:DWORD
	v_fmac_f16_e32 v23, v43, v20
	v_fma_f16 v18, v42, v19, -v18
	v_fmac_f16_e32 v25, v42, v21
	v_fma_f16 v19, v41, v24, -v27
	v_fmac_f16_e32 v28, v41, v8
	v_pack_b32_f16 v8, v22, v16
	v_pack_b32_f16 v11, v15, v11
	;; [unrolled: 1-line block ×5, first 2 shown]
	ds_write2_b32 v2, v9, v13 offset0:51 offset1:168
	ds_write2_b32 v4, v14, v10 offset0:106 offset1:223
	;; [unrolled: 1-line block ×4, first 2 shown]
	ds_write_b32 v54, v17 offset:5148
	s_waitcnt lgkmcnt(0)
	s_barrier
	buffer_gl0_inv
	ds_read2_b32 v[8:9], v54 offset1:117
	ds_read2_b32 v[10:11], v5 offset0:62 offset1:179
	ds_read2_b32 v[13:14], v4 offset0:106 offset1:223
	;; [unrolled: 1-line block ×5, first 2 shown]
	v_and_b32_e32 v27, 1, v50
	v_and_b32_e32 v28, 1, v75
	s_waitcnt lgkmcnt(0)
	s_barrier
	buffer_gl0_inv
	v_lshlrev_b32_e32 v30, 2, v27
	v_lshlrev_b32_e32 v31, 2, v28
	v_pk_add_f16 v21, v8, v10 neg_lo:[0,1] neg_hi:[0,1]
	v_pk_add_f16 v10, v9, v11 neg_lo:[0,1] neg_hi:[0,1]
	;; [unrolled: 1-line block ×6, first 2 shown]
	v_pk_fma_f16 v20, v8, 2.0, v21 op_sel_hi:[1,0,1] neg_lo:[0,0,1] neg_hi:[0,0,1]
	v_pk_fma_f16 v9, v9, 2.0, v10 op_sel_hi:[1,0,1] neg_lo:[0,0,1] neg_hi:[0,0,1]
	;; [unrolled: 1-line block ×4, first 2 shown]
	v_and_b32_e32 v17, 1, v34
	v_pk_fma_f16 v14, v14, 2.0, v15 op_sel_hi:[1,0,1] neg_lo:[0,0,1] neg_hi:[0,0,1]
	v_pk_fma_f16 v18, v18, 2.0, v19 op_sel_hi:[1,0,1] neg_lo:[0,0,1] neg_hi:[0,0,1]
	ds_write_b64 v61, v[20:21]
	ds_write_b64 v60, v[9:10]
	;; [unrolled: 1-line block ×4, first 2 shown]
	ds_write_b64 v36, v[24:25] offset:3744
	ds_write_b64 v61, v[18:19] offset:4680
	s_waitcnt lgkmcnt(0)
	s_barrier
	buffer_gl0_inv
	s_clause 0x2
	global_load_dword v37, v30, s[14:15]
	global_load_dword v38, v31, s[14:15]
	global_load_ushort v39, v32, s[14:15] offset:2
	v_lshlrev_b32_e32 v8, 2, v17
	s_clause 0x2
	global_load_ushort v58, v31, s[14:15] offset:2
	global_load_ushort v57, v8, s[14:15]
	global_load_ushort v40, v32, s[14:15]
	v_and_or_b32 v8, 0xfc, v26, v27
	v_lshlrev_b32_e32 v13, 1, v73
	v_lshlrev_b32_e32 v15, 1, v75
	;; [unrolled: 1-line block ×3, first 2 shown]
	v_and_or_b32 v25, 0x1fc, v74, v17
	v_lshlrev_b32_e32 v63, 2, v8
	ds_read2_b32 v[8:9], v5 offset0:62 offset1:179
	ds_read2_b32 v[10:11], v54 offset1:117
	v_and_or_b32 v23, 0x3fc, v13, v29
	ds_read2_b32 v[13:14], v7 offset0:40 offset1:157
	v_and_or_b32 v24, 0x5fc, v15, v28
	ds_read2_b32 v[15:16], v6 offset0:18 offset1:135
	;; [unrolled: 2-line block ×3, first 2 shown]
	ds_read2_b32 v[19:20], v3 offset0:84 offset1:201
	v_and_or_b32 v27, 0x7fc, v76, v27
	v_lshlrev_b32_e32 v66, 2, v23
	v_lshlrev_b32_e32 v64, 2, v25
	;; [unrolled: 1-line block ×5, first 2 shown]
	v_and_b32_e32 v21, 3, v50
	v_and_b32_e32 v30, 3, v34
	;; [unrolled: 1-line block ×3, first 2 shown]
	s_waitcnt vmcnt(0) lgkmcnt(0)
	s_barrier
	v_lshrrev_b32_e32 v23, 16, v8
	v_lshrrev_b32_e32 v25, 16, v9
	;; [unrolled: 1-line block ×12, first 2 shown]
	v_lshlrev_b32_e32 v22, 3, v21
	v_lshlrev_b32_e32 v28, 3, v30
	buffer_gl0_inv
	v_mul_f16_sdwa v72, v23, v37 dst_sel:DWORD dst_unused:UNUSED_PAD src0_sel:DWORD src1_sel:WORD_1
	v_mul_f16_sdwa v77, v8, v37 dst_sel:DWORD dst_unused:UNUSED_PAD src0_sel:DWORD src1_sel:WORD_1
	;; [unrolled: 1-line block ×5, first 2 shown]
	v_mul_f16_e32 v81, v27, v39
	v_mul_f16_sdwa v82, v13, v37 dst_sel:DWORD dst_unused:UNUSED_PAD src0_sel:DWORD src1_sel:WORD_1
	v_mul_f16_e32 v83, v14, v39
	v_mul_f16_sdwa v84, v29, v37 dst_sel:DWORD dst_unused:UNUSED_PAD src0_sel:DWORD src1_sel:WORD_1
	v_mul_f16_sdwa v86, v15, v37 dst_sel:DWORD dst_unused:UNUSED_PAD src0_sel:DWORD src1_sel:WORD_1
	v_mul_f16_e32 v85, v32, v58
	v_mul_f16_e32 v87, v16, v58
	v_fma_f16 v8, v8, v37, -v72
	v_fmac_f16_e32 v77, v23, v37
	v_fma_f16 v9, v9, v57, -v78
	v_fma_f16 v13, v13, v37, -v80
	v_fma_f16 v14, v14, v40, -v81
	v_fma_f16 v15, v15, v37, -v84
	v_fmac_f16_e32 v79, v25, v57
	v_fmac_f16_e32 v82, v26, v37
	;; [unrolled: 1-line block ×4, first 2 shown]
	v_fma_f16 v16, v16, v38, -v85
	v_fmac_f16_e32 v87, v32, v38
	v_sub_f16_e32 v8, v10, v8
	v_sub_f16_e32 v23, v24, v77
	;; [unrolled: 1-line block ×12, first 2 shown]
	v_fma_f16 v10, v10, 2.0, -v8
	v_fma_f16 v24, v24, 2.0, -v23
	v_pack_b32_f16 v8, v8, v23
	v_fma_f16 v11, v11, 2.0, -v9
	v_fma_f16 v17, v17, 2.0, -v13
	;; [unrolled: 1-line block ×5, first 2 shown]
	v_pack_b32_f16 v9, v9, v25
	v_fma_f16 v25, v56, 2.0, -v26
	v_pack_b32_f16 v13, v13, v26
	v_fma_f16 v26, v69, 2.0, -v27
	;; [unrolled: 2-line block ×3, first 2 shown]
	v_fma_f16 v20, v20, 2.0, -v16
	v_pack_b32_f16 v15, v15, v29
	v_fma_f16 v29, v71, 2.0, -v32
	v_pack_b32_f16 v10, v10, v24
	v_pack_b32_f16 v11, v11, v23
	;; [unrolled: 1-line block ×3, first 2 shown]
	v_and_b32_e32 v27, 3, v73
	v_pack_b32_f16 v17, v17, v25
	v_pack_b32_f16 v18, v18, v26
	;; [unrolled: 1-line block ×4, first 2 shown]
	ds_write2_b32 v63, v10, v8 offset1:2
	ds_write2_b32 v64, v11, v9 offset1:2
	ds_write2_b32 v65, v17, v13 offset1:2
	ds_write2_b32 v66, v18, v14 offset1:2
	ds_write2_b32 v67, v19, v15 offset1:2
	ds_write2_b32 v68, v20, v16 offset1:2
	s_waitcnt lgkmcnt(0)
	s_barrier
	buffer_gl0_inv
	s_clause 0x1
	global_load_dwordx2 v[13:14], v22, s[14:15] offset:8
	global_load_dwordx2 v[15:16], v28, s[14:15] offset:8
	v_lshlrev_b32_e32 v8, 3, v31
	v_lshlrev_b32_e32 v9, 3, v27
	s_clause 0x1
	global_load_dwordx2 v[17:18], v8, s[14:15] offset:8
	global_load_dwordx2 v[19:20], v9, s[14:15] offset:8
	v_lshrrev_b32_e32 v8, 2, v50
	v_lshrrev_b32_e32 v22, 2, v34
	;; [unrolled: 1-line block ×4, first 2 shown]
	v_mul_u32_u24_e32 v8, 12, v8
	v_mul_u32_u24_e32 v29, 12, v25
	;; [unrolled: 1-line block ×3, first 2 shown]
	v_or_b32_e32 v28, v8, v21
	ds_read2_b32 v[8:9], v3 offset0:84 offset1:201
	ds_read2_b32 v[10:11], v7 offset0:40 offset1:157
	ds_read2_b32 v[23:24], v54 offset1:117
	v_mul_u32_u24_e32 v7, 12, v22
	ds_read2_b32 v[21:22], v5 offset0:62 offset1:179
	ds_read2_b32 v[5:6], v6 offset0:18 offset1:135
	;; [unrolled: 1-line block ×3, first 2 shown]
	v_or_b32_e32 v27, v32, v27
	v_or_b32_e32 v29, v29, v31
	v_lshlrev_b32_e32 v72, 2, v28
	v_or_b32_e32 v7, v7, v30
	s_waitcnt vmcnt(0) lgkmcnt(0)
	v_lshlrev_b32_e32 v69, 2, v27
	v_lshlrev_b32_e32 v70, 2, v29
	s_barrier
	v_lshlrev_b32_e32 v71, 2, v7
	buffer_gl0_inv
	v_lshrrev_b32_e32 v0, 16, v8
	v_lshrrev_b32_e32 v7, 16, v10
	;; [unrolled: 1-line block ×12, first 2 shown]
	v_mul_f16_sdwa v55, v8, v13 dst_sel:DWORD dst_unused:UNUSED_PAD src0_sel:DWORD src1_sel:WORD_1
	v_mul_f16_sdwa v56, v10, v14 dst_sel:DWORD dst_unused:UNUSED_PAD src0_sel:DWORD src1_sel:WORD_1
	;; [unrolled: 1-line block ×16, first 2 shown]
	v_fmac_f16_e32 v55, v0, v13
	v_fmac_f16_e32 v56, v7, v14
	v_fma_f16 v0, v8, v13, -v80
	v_fma_f16 v7, v10, v14, -v81
	v_fma_f16 v8, v9, v15, -v82
	v_fma_f16 v9, v11, v16, -v84
	v_fmac_f16_e32 v83, v27, v15
	v_fmac_f16_e32 v85, v28, v16
	;; [unrolled: 1-line block ×4, first 2 shown]
	v_fma_f16 v10, v21, v17, -v88
	v_fma_f16 v5, v5, v18, -v89
	;; [unrolled: 1-line block ×4, first 2 shown]
	v_fmac_f16_e32 v91, v31, v19
	v_fmac_f16_e32 v95, v32, v20
	v_add_f16_e32 v21, v93, v55
	v_add_f16_e32 v22, v55, v56
	;; [unrolled: 1-line block ×4, first 2 shown]
	v_sub_f16_e32 v32, v55, v56
	v_add_f16_e32 v30, v8, v9
	v_add_f16_e32 v55, v83, v85
	;; [unrolled: 1-line block ×4, first 2 shown]
	v_sub_f16_e32 v81, v83, v85
	v_add_f16_e32 v83, v86, v87
	v_add_f16_e32 v88, v10, v5
	v_sub_f16_e32 v0, v0, v7
	v_add_f16_e32 v90, v11, v6
	v_add_f16_e32 v92, v77, v91
	v_add_f16_e32 v96, v91, v95
	v_add_f16_e32 v80, v21, v56
	v_fmac_f16_e32 v93, -0.5, v22
	v_add_f16_e32 v21, v27, v7
	v_fma_f16 v27, -0.5, v28, v23
	v_sub_f16_e32 v8, v8, v9
	v_fmac_f16_e32 v24, -0.5, v30
	v_fmac_f16_e32 v79, -0.5, v55
	v_add_f16_e32 v82, v78, v86
	v_sub_f16_e32 v84, v86, v87
	v_add_f16_e32 v86, v25, v10
	v_sub_f16_e32 v10, v10, v5
	v_add_f16_e32 v28, v29, v9
	v_fmac_f16_e32 v78, -0.5, v83
	v_fma_f16 v29, -0.5, v88, v25
	v_add_f16_e32 v89, v26, v11
	v_sub_f16_e32 v11, v11, v6
	v_sub_f16_e32 v91, v91, v95
	v_fmac_f16_e32 v26, -0.5, v90
	v_add_f16_e32 v99, v92, v95
	v_fmac_f16_e32 v77, -0.5, v96
	v_fmamk_f16 v22, v32, 0x3aee, v27
	v_fmamk_f16 v95, v0, 0xbaee, v93
	v_fmac_f16_e32 v27, 0xbaee, v32
	v_fmac_f16_e32 v93, 0x3aee, v0
	v_add_f16_e32 v94, v31, v85
	v_fmamk_f16 v23, v81, 0x3aee, v24
	v_fmamk_f16 v102, v8, 0xbaee, v79
	v_fmac_f16_e32 v24, 0xbaee, v81
	v_fmac_f16_e32 v79, 0x3aee, v8
	v_add_f16_e32 v100, v82, v87
	v_add_f16_e32 v31, v86, v5
	v_fmamk_f16 v32, v84, 0x3aee, v29
	v_fmamk_f16 v103, v10, 0xbaee, v78
	v_add_f16_e32 v30, v89, v6
	v_pack_b32_f16 v5, v21, v80
	v_fmac_f16_e32 v29, 0xbaee, v84
	v_fmac_f16_e32 v78, 0x3aee, v10
	v_fmamk_f16 v25, v91, 0x3aee, v26
	v_fmamk_f16 v101, v11, 0xbaee, v77
	v_fmac_f16_e32 v26, 0xbaee, v91
	v_fmac_f16_e32 v77, 0x3aee, v11
	v_pack_b32_f16 v8, v22, v95
	v_pack_b32_f16 v9, v27, v93
	;; [unrolled: 1-line block ×11, first 2 shown]
	ds_write2_b32 v72, v5, v8 offset1:4
	ds_write_b32 v72, v9 offset:32
	ds_write2_b32 v71, v0, v10 offset1:4
	ds_write_b32 v71, v11 offset:32
	;; [unrolled: 2-line block ×4, first 2 shown]
	s_waitcnt lgkmcnt(0)
	s_barrier
	buffer_gl0_inv
	s_and_saveexec_b32 s0, vcc_lo
	s_cbranch_execz .LBB0_3
; %bb.2:
	v_add_nc_u32_e32 v0, 0x800, v54
	ds_read2_b32 v[21:22], v54 offset1:108
	ds_read2_b32 v[27:28], v4 offset0:88 offset1:196
	ds_read2_b32 v[23:24], v3 offset0:48 offset1:156
	;; [unrolled: 1-line block ×5, first 2 shown]
	ds_read_b32 v104, v54 offset:5184
	s_waitcnt lgkmcnt(6)
	v_lshrrev_b32_e32 v80, 16, v21
	v_lshrrev_b32_e32 v95, 16, v22
	s_waitcnt lgkmcnt(5)
	v_lshrrev_b32_e32 v93, 16, v27
	v_lshrrev_b32_e32 v94, 16, v28
	;; [unrolled: 3-line block ×6, first 2 shown]
	s_waitcnt lgkmcnt(0)
	v_lshrrev_b32_e32 v105, 16, v104
.LBB0_3:
	s_or_b32 exec_lo, exec_lo, s0
	v_and_b32_e32 v0, 0xff, v50
	v_mul_lo_u16 v0, 0xab, v0
	v_lshrrev_b16 v56, 11, v0
	v_mul_lo_u16 v0, v56, 12
	v_sub_nc_u16 v0, v50, v0
	v_and_b32_e32 v55, 0xff, v0
	v_mad_u64_u32 v[8:9], null, v55, 48, s[14:15]
	s_clause 0x2
	global_load_dwordx4 v[4:7], v[8:9], off offset:40
	global_load_dwordx4 v[0:3], v[8:9], off offset:56
	;; [unrolled: 1-line block ×3, first 2 shown]
	s_waitcnt vmcnt(0)
	s_barrier
	buffer_gl0_inv
	v_mul_f16_sdwa v96, v95, v4 dst_sel:DWORD dst_unused:UNUSED_PAD src0_sel:DWORD src1_sel:WORD_1
	v_mul_f16_sdwa v92, v22, v4 dst_sel:DWORD dst_unused:UNUSED_PAD src0_sel:DWORD src1_sel:WORD_1
	;; [unrolled: 1-line block ×10, first 2 shown]
	v_fma_f16 v98, v22, v4, -v96
	v_fmac_f16_e32 v92, v95, v4
	v_fma_f16 v22, v104, v11, -v115
	v_fmac_f16_e32 v82, v105, v11
	v_mul_f16_sdwa v106, v94, v6 dst_sel:DWORD dst_unused:UNUSED_PAD src0_sel:DWORD src1_sel:WORD_1
	v_mul_f16_sdwa v107, v102, v7 dst_sel:DWORD dst_unused:UNUSED_PAD src0_sel:DWORD src1_sel:WORD_1
	;; [unrolled: 1-line block ×7, first 2 shown]
	v_fma_f16 v97, v27, v5, -v97
	v_fmac_f16_e32 v91, v93, v5
	v_fmac_f16_e32 v90, v94, v6
	v_fma_f16 v94, v24, v0, -v108
	v_fma_f16 v24, v26, v10, -v114
	v_fmac_f16_e32 v81, v77, v10
	v_sub_f16_e32 v116, v98, v22
	v_sub_f16_e32 v135, v92, v82
	v_mul_f16_sdwa v89, v23, v7 dst_sel:DWORD dst_unused:UNUSED_PAD src0_sel:DWORD src1_sel:WORD_1
	v_mul_f16_sdwa v87, v31, v1 dst_sel:DWORD dst_unused:UNUSED_PAD src0_sel:DWORD src1_sel:WORD_1
	;; [unrolled: 1-line block ×5, first 2 shown]
	v_fma_f16 v96, v28, v6, -v106
	v_fma_f16 v95, v23, v7, -v107
	;; [unrolled: 1-line block ×5, first 2 shown]
	v_fmac_f16_e32 v84, v101, v9
	v_add_f16_e32 v110, v98, v22
	v_add_f16_e32 v142, v92, v82
	v_sub_f16_e32 v120, v97, v24
	v_sub_f16_e32 v137, v91, v81
	v_mul_f16_e32 v105, 0xb770, v135
	v_mul_f16_e32 v108, 0xb770, v116
	v_mul_f16_sdwa v85, v29, v3 dst_sel:DWORD dst_unused:UNUSED_PAD src0_sel:DWORD src1_sel:WORD_1
	v_fmac_f16_e32 v89, v102, v7
	v_fma_f16 v28, v29, v3, -v111
	v_fma_f16 v27, v30, v8, -v112
	v_fmac_f16_e32 v83, v99, v8
	v_add_f16_e32 v111, v97, v24
	v_add_f16_e32 v144, v91, v81
	v_sub_f16_e32 v113, v96, v23
	v_sub_f16_e32 v139, v90, v84
	v_mul_f16_e32 v102, 0xba95, v137
	v_mul_f16_e32 v106, 0xba95, v120
	v_fmamk_f16 v25, v110, 0x3b15, v105
	v_fma_f16 v77, v142, 0x3b15, -v108
	v_mul_f16_sdwa v86, v32, v2 dst_sel:DWORD dst_unused:UNUSED_PAD src0_sel:DWORD src1_sel:WORD_1
	v_fmac_f16_e32 v88, v79, v0
	v_fmac_f16_e32 v87, v100, v1
	;; [unrolled: 1-line block ×3, first 2 shown]
	v_add_f16_e32 v112, v96, v23
	v_add_f16_e32 v145, v90, v84
	v_sub_f16_e32 v115, v95, v27
	v_sub_f16_e32 v134, v89, v83
	v_mul_f16_e32 v30, 0xbbf1, v139
	v_mul_f16_e32 v100, 0xbbf1, v113
	v_fmamk_f16 v78, v111, 0x388b, v102
	v_fma_f16 v79, v144, 0x388b, -v106
	v_add_f16_e32 v25, v21, v25
	v_add_f16_e32 v77, v80, v77
	v_fmac_f16_e32 v86, v103, v2
	v_add_f16_e32 v107, v95, v27
	v_add_f16_e32 v141, v89, v83
	v_sub_f16_e32 v119, v94, v28
	v_sub_f16_e32 v136, v88, v85
	v_mul_f16_e32 v29, 0xbb7b, v134
	v_mul_f16_e32 v32, 0xbb7b, v115
	v_fmamk_f16 v101, v112, 0x2fb7, v30
	v_fma_f16 v114, v145, 0x2fb7, -v100
	v_add_f16_e32 v78, v78, v25
	v_add_f16_e32 v77, v79, v77
	;; [unrolled: 1-line block ×4, first 2 shown]
	v_sub_f16_e32 v109, v93, v31
	v_sub_f16_e32 v138, v87, v86
	v_mul_f16_e32 v26, 0xb94e, v136
	v_mul_f16_e32 v99, 0xb94e, v119
	v_fmamk_f16 v79, v107, 0xb5ac, v29
	v_fma_f16 v117, v141, 0xb5ac, -v32
	v_add_f16_e32 v78, v101, v78
	v_add_f16_e32 v77, v114, v77
	;; [unrolled: 1-line block ×4, first 2 shown]
	v_mul_f16_e32 v25, 0xb3a8, v138
	v_mul_f16_e32 v101, 0xb3a8, v109
	v_fmamk_f16 v114, v103, 0xb9fd, v26
	v_fma_f16 v118, v143, 0xb9fd, -v99
	v_add_f16_e32 v78, v79, v78
	v_add_f16_e32 v77, v117, v77
	v_fmamk_f16 v117, v104, 0xbbc4, v25
	v_fma_f16 v121, v140, 0xbbc4, -v101
	v_lshlrev_b32_e32 v79, 2, v76
	v_add_f16_e32 v114, v114, v78
	v_add_f16_e32 v77, v118, v77
	v_lshlrev_b32_e32 v78, 3, v75
	v_add_f16_e32 v76, v117, v114
	v_add_f16_e32 v77, v121, v77
	s_and_saveexec_b32 s0, vcc_lo
	s_cbranch_execz .LBB0_5
; %bb.4:
	v_mul_f16_e32 v146, 0x388b, v142
	v_mul_f16_e32 v147, 0xb5ac, v144
	;; [unrolled: 1-line block ×5, first 2 shown]
	v_fmamk_f16 v75, v116, 0x3a95, v146
	v_fmamk_f16 v129, v120, 0x3b7b, v147
	;; [unrolled: 1-line block ×4, first 2 shown]
	v_mul_f16_e32 v151, 0xbb7b, v137
	v_add_f16_e32 v127, v80, v75
	v_mul_f16_e32 v132, 0x2fb7, v143
	v_mul_f16_e32 v153, 0xb3a8, v139
	v_add_f16_e32 v133, v21, v131
	v_fmamk_f16 v152, v111, 0xb5ac, v151
	v_add_f16_e32 v127, v129, v127
	v_mul_f16_e32 v131, 0x3b15, v140
	v_mul_f16_e32 v154, 0x394e, v134
	;; [unrolled: 1-line block ×3, first 2 shown]
	v_add_f16_e32 v133, v152, v133
	v_add_f16_e32 v127, v130, v127
	v_fmamk_f16 v130, v115, 0xb94e, v150
	v_fmamk_f16 v152, v112, 0xbbc4, v153
	v_mul_f16_e32 v156, 0x3bf1, v136
	v_mul_f16_e32 v157, 0xbbc4, v144
	;; [unrolled: 1-line block ×3, first 2 shown]
	v_add_f16_e32 v127, v130, v127
	v_fmamk_f16 v130, v119, 0xbbf1, v132
	v_add_f16_e32 v133, v152, v133
	v_fmamk_f16 v152, v107, 0xb9fd, v154
	v_fmamk_f16 v159, v120, 0x33a8, v157
	v_mul_f16_e32 v160, 0xb5ac, v145
	v_add_f16_e32 v127, v130, v127
	v_fmamk_f16 v130, v109, 0xb770, v131
	v_add_f16_e32 v133, v152, v133
	v_fmamk_f16 v152, v103, 0x2fb7, v156
	v_mul_f16_e32 v161, 0xbbf1, v135
	v_fmamk_f16 v162, v113, 0xbb7b, v160
	v_add_f16_e32 v127, v130, v127
	v_fmamk_f16 v130, v116, 0x3bf1, v155
	v_add_f16_e32 v133, v152, v133
	v_fmamk_f16 v152, v104, 0x3b15, v158
	v_mul_f16_e32 v163, 0x3b15, v141
	v_mul_f16_e32 v164, 0x388b, v143
	v_add_f16_e32 v130, v80, v130
	v_mul_f16_e32 v166, 0x3b7b, v139
	v_mul_f16_e32 v167, 0xb9fd, v140
	;; [unrolled: 1-line block ×4, first 2 shown]
	v_add_f16_e32 v159, v159, v130
	v_add_f16_e32 v130, v152, v133
	v_fmamk_f16 v133, v110, 0x2fb7, v161
	v_mul_f16_e32 v152, 0xb3a8, v137
	v_fmamk_f16 v170, v107, 0x3b15, v168
	v_add_f16_e32 v159, v162, v159
	v_fmamk_f16 v162, v115, 0xb770, v163
	v_add_f16_e32 v133, v21, v133
	v_fmamk_f16 v165, v111, 0xbbc4, v152
	v_mul_f16_e32 v171, 0xba95, v136
	v_mul_f16_e32 v172, 0xb94e, v138
	v_add_f16_e32 v159, v162, v159
	v_fmamk_f16 v162, v119, 0x3a95, v164
	v_add_f16_e32 v133, v165, v133
	v_fmamk_f16 v165, v112, 0xb5ac, v166
	v_mul_f16_e32 v174, 0x3b15, v145
	v_mul_f16_e32 v175, 0xbb7b, v135
	v_add_f16_e32 v159, v162, v159
	v_fmamk_f16 v162, v109, 0x394e, v167
	v_add_f16_e32 v165, v165, v133
	v_mul_f16_e32 v176, 0x2fb7, v141
	v_mul_f16_e32 v177, 0x394e, v137
	;; [unrolled: 1-line block ×3, first 2 shown]
	v_add_f16_e32 v133, v162, v159
	v_fmamk_f16 v159, v116, 0x3b7b, v169
	v_mul_f16_e32 v162, 0xb9fd, v144
	v_add_f16_e32 v165, v170, v165
	v_fmamk_f16 v170, v103, 0x388b, v171
	v_fmamk_f16 v179, v111, 0xb9fd, v177
	v_add_f16_e32 v159, v80, v159
	v_fmamk_f16 v173, v120, 0xb94e, v162
	v_mul_f16_e32 v180, 0x3770, v139
	v_add_f16_e32 v165, v170, v165
	v_fmamk_f16 v170, v104, 0xb9fd, v172
	v_mul_f16_e32 v181, 0x388b, v140
	;; [unrolled: 3-line block ×5, first 2 shown]
	v_add_f16_e32 v170, v21, v170
	v_mul_f16_e32 v185, 0x2fb7, v144
	v_mul_f16_e32 v186, 0x3a95, v138
	v_add_f16_e32 v159, v173, v159
	v_fmamk_f16 v173, v119, 0xb3a8, v178
	v_add_f16_e32 v170, v179, v170
	v_fmamk_f16 v179, v112, 0x3b15, v180
	v_fmamk_f16 v187, v120, 0xbbf1, v185
	v_mul_f16_e32 v188, 0x388b, v145
	v_add_f16_e32 v159, v173, v159
	v_fmamk_f16 v173, v109, 0xba95, v181
	v_add_f16_e32 v170, v179, v170
	v_fmamk_f16 v179, v107, 0x2fb7, v182
	v_mul_f16_e32 v189, 0xb94e, v135
	v_mul_f16_e32 v190, 0xbbc4, v141
	v_add_f16_e32 v159, v173, v159
	v_fmamk_f16 v173, v116, 0x394e, v183
	v_add_f16_e32 v170, v179, v170
	v_fmamk_f16 v179, v103, 0xbbc4, v184
	v_mul_f16_e32 v191, 0x3bf1, v137
	v_mul_f16_e32 v192, 0x3b15, v143
	v_add_f16_e32 v173, v80, v173
	v_mul_f16_e32 v194, 0xba95, v139
	v_add_f16_e32 v170, v179, v170
	v_fmamk_f16 v179, v104, 0x388b, v186
	v_fmamk_f16 v193, v111, 0x2fb7, v191
	v_add_f16_e32 v173, v187, v173
	v_fmamk_f16 v187, v113, 0x3a95, v188
	v_mul_f16_e32 v195, 0xb5ac, v140
	v_add_f16_e32 v170, v179, v170
	v_fmamk_f16 v179, v110, 0xb9fd, v189
	v_mul_f16_e32 v196, 0x33a8, v134
	v_add_f16_e32 v173, v187, v173
	v_fmamk_f16 v187, v115, 0xb3a8, v190
	v_mul_f16_e32 v123, 0x3b15, v142
	v_add_f16_e32 v179, v21, v179
	v_mul_f16_e32 v142, 0xbbc4, v142
	v_mul_f16_e32 v197, 0x3770, v136
	v_add_f16_e32 v173, v187, v173
	v_fmamk_f16 v187, v119, 0xb770, v192
	v_add_f16_e32 v179, v193, v179
	v_fmamk_f16 v193, v112, 0x388b, v194
	v_mul_f16_e32 v128, 0x388b, v144
	v_mul_f16_e32 v144, 0x3b15, v144
	v_add_f16_e32 v173, v187, v173
	v_fmamk_f16 v187, v109, 0x3b7b, v195
	v_add_f16_e32 v179, v193, v179
	v_fmamk_f16 v193, v107, 0xbbc4, v196
	;; [unrolled: 6-line block ×3, first 2 shown]
	v_fmamk_f16 v199, v120, 0xb770, v144
	v_mul_f16_e32 v145, 0xb9fd, v145
	v_add_f16_e32 v187, v80, v187
	v_mul_f16_e32 v135, 0xb3a8, v135
	v_add_f16_e32 v179, v193, v179
	v_fmamk_f16 v193, v104, 0xb5ac, v198
	v_fmac_f16_e32 v142, 0xb3a8, v116
	v_mul_f16_e32 v124, 0xb5ac, v141
	v_add_f16_e32 v187, v199, v187
	v_fmamk_f16 v199, v113, 0x394e, v145
	v_mul_f16_e32 v141, 0x388b, v141
	v_add_f16_e32 v179, v193, v179
	v_fmamk_f16 v193, v110, 0xbbc4, v135
	v_mul_f16_e32 v137, 0x3770, v137
	v_add_f16_e32 v142, v80, v142
	v_fmac_f16_e32 v144, 0x3770, v120
	v_mul_f16_e32 v122, 0xb9fd, v143
	v_add_f16_e32 v187, v199, v187
	v_fmamk_f16 v199, v115, 0xba95, v141
	v_mul_f16_e32 v143, 0xb5ac, v143
	v_add_f16_e32 v193, v21, v193
	v_fmamk_f16 v200, v111, 0x3b15, v137
	v_mul_f16_e32 v139, 0xb94e, v139
	v_add_f16_e32 v142, v144, v142
	v_fmac_f16_e32 v145, 0xb94e, v113
	v_add_f16_e32 v187, v199, v187
	v_fmamk_f16 v199, v119, 0x3b7b, v143
	v_add_f16_e32 v193, v200, v193
	v_fmamk_f16 v200, v112, 0xb9fd, v139
	v_mul_f16_e32 v134, 0x3a95, v134
	v_add_f16_e32 v142, v145, v142
	v_fmac_f16_e32 v141, 0x3a95, v115
	v_mul_f16_e32 v129, 0xbbc4, v140
	v_add_f16_e32 v187, v199, v187
	v_add_f16_e32 v193, v200, v193
	v_fmamk_f16 v199, v107, 0x388b, v134
	v_mul_f16_e32 v140, 0x2fb7, v140
	v_fma_f16 v135, v110, 0xbbc4, -v135
	v_add_f16_e32 v141, v141, v142
	v_fmac_f16_e32 v143, 0xbb7b, v119
	v_add_f16_e32 v144, v199, v193
	v_fmamk_f16 v199, v109, 0xbbf1, v140
	v_add_f16_e32 v135, v21, v135
	v_fma_f16 v137, v111, 0x3b15, -v137
	v_add_f16_e32 v141, v143, v141
	v_fmac_f16_e32 v140, 0x3bf1, v109
	v_mul_f16_e32 v136, 0xbb7b, v136
	v_fma_f16 v134, v107, 0x388b, -v134
	v_add_f16_e32 v135, v137, v135
	v_fma_f16 v137, v112, 0xb9fd, -v139
	v_add_f16_e32 v139, v140, v141
	v_fma_f16 v140, v110, 0xb9fd, -v189
	v_fmamk_f16 v193, v103, 0xb5ac, v136
	v_mul_f16_e32 v138, 0x3bf1, v138
	v_add_f16_e32 v135, v137, v135
	v_fmac_f16_e32 v183, 0xb94e, v116
	v_add_f16_e32 v137, v21, v140
	v_fma_f16 v140, v111, 0x2fb7, -v191
	v_add_f16_e32 v144, v193, v144
	v_add_f16_e32 v134, v134, v135
	v_fma_f16 v135, v103, 0xb5ac, -v136
	v_fmamk_f16 v145, v104, 0x2fb7, v138
	v_add_f16_e32 v136, v140, v137
	v_fma_f16 v137, v112, 0x388b, -v194
	v_add_f16_e32 v143, v80, v183
	v_add_f16_e32 v134, v135, v134
	v_fmac_f16_e32 v185, 0x3bf1, v120
	v_fmac_f16_e32 v155, 0xbbf1, v116
	v_add_f16_e32 v135, v137, v136
	v_fma_f16 v136, v107, 0xbbc4, -v196
	v_add_f16_e32 v142, v145, v144
	v_add_f16_e32 v141, v185, v143
	v_fma_f16 v143, v111, 0xb9fd, -v177
	v_add_f16_e32 v144, v80, v155
	v_add_f16_e32 v135, v136, v135
	v_fma_f16 v136, v103, 0x3b15, -v197
	v_fmac_f16_e32 v157, 0xb3a8, v120
	v_fmac_f16_e32 v160, 0x3b7b, v113
	v_mul_f16_e32 v117, 0x3b15, v110
	v_fmac_f16_e32 v163, 0x3770, v115
	v_add_f16_e32 v135, v136, v135
	v_fma_f16 v136, v110, 0xb5ac, -v175
	v_add_f16_e32 v144, v157, v144
	v_fma_f16 v145, v110, 0x2fb7, -v161
	v_fma_f16 v110, v110, 0x388b, -v149
	v_mul_f16_e32 v126, 0x388b, v111
	v_add_f16_e32 v136, v21, v136
	v_add_f16_e32 v144, v160, v144
	v_fmac_f16_e32 v164, 0xba95, v119
	v_add_f16_e32 v145, v21, v145
	v_fma_f16 v152, v111, 0xbbc4, -v152
	v_add_f16_e32 v136, v143, v136
	v_fma_f16 v143, v112, 0x3b15, -v180
	v_add_f16_e32 v144, v163, v144
	v_add_f16_e32 v110, v21, v110
	v_fma_f16 v111, v111, 0xb5ac, -v151
	v_add_f16_e32 v98, v21, v98
	;; [unrolled: 3-line block ×3, first 2 shown]
	v_add_f16_e32 v110, v111, v110
	v_fma_f16 v111, v112, 0xbbc4, -v153
	v_mul_f16_e32 v118, 0xb5ac, v107
	v_add_f16_e32 v136, v143, v136
	v_fma_f16 v143, v103, 0xbbc4, -v184
	v_fmac_f16_e32 v188, 0xba95, v113
	v_fmac_f16_e32 v162, 0x394e, v120
	;; [unrolled: 1-line block ×3, first 2 shown]
	v_add_f16_e32 v110, v111, v110
	v_add_f16_e32 v136, v143, v136
	;; [unrolled: 1-line block ×4, first 2 shown]
	v_fma_f16 v145, v112, 0xb5ac, -v166
	v_add_f16_e32 v97, v98, v97
	v_add_f16_e32 v91, v92, v91
	;; [unrolled: 1-line block ×3, first 2 shown]
	v_fmac_f16_e32 v190, 0x33a8, v115
	v_add_f16_e32 v120, v145, v144
	v_fma_f16 v144, v107, 0x3b15, -v168
	v_fma_f16 v107, v107, 0xb9fd, -v154
	;; [unrolled: 1-line block ×3, first 2 shown]
	v_add_f16_e32 v96, v97, v96
	v_add_f16_e32 v90, v91, v90
	;; [unrolled: 1-line block ×4, first 2 shown]
	v_fmac_f16_e32 v192, 0x3770, v119
	v_fmac_f16_e32 v169, 0xbb7b, v116
	;; [unrolled: 1-line block ×3, first 2 shown]
	v_add_f16_e32 v95, v96, v95
	v_add_f16_e32 v91, v92, v98
	;; [unrolled: 1-line block ×7, first 2 shown]
	v_sub_f16_e32 v90, v117, v105
	v_add_f16_e32 v80, v80, v92
	v_add_f16_e32 v92, v95, v94
	;; [unrolled: 1-line block ×3, first 2 shown]
	v_mul_f16_e32 v121, 0x2fb7, v112
	v_add_f16_e32 v94, v106, v128
	v_add_f16_e32 v21, v21, v90
	v_sub_f16_e32 v89, v126, v102
	v_add_f16_e32 v90, v92, v93
	v_add_f16_e32 v87, v88, v87
	;; [unrolled: 1-line block ×6, first 2 shown]
	v_sub_f16_e32 v30, v121, v30
	v_add_f16_e32 v86, v87, v86
	v_add_f16_e32 v145, v147, v146
	v_fmac_f16_e32 v148, 0xb3a8, v113
	v_add_f16_e32 v80, v88, v80
	v_add_f16_e32 v32, v32, v124
	;; [unrolled: 1-line block ×5, first 2 shown]
	v_mul_f16_e32 v114, 0xb9fd, v103
	v_add_f16_e32 v140, v162, v140
	v_fmac_f16_e32 v174, 0x3770, v113
	v_add_f16_e32 v113, v144, v120
	v_add_f16_e32 v144, v148, v145
	v_fmac_f16_e32 v150, 0x394e, v115
	v_sub_f16_e32 v29, v118, v29
	v_add_f16_e32 v31, v32, v80
	v_add_f16_e32 v27, v28, v27
	v_add_f16_e32 v28, v99, v122
	v_add_f16_e32 v30, v30, v83
	v_mul_f16_e32 v75, 0xbbc4, v104
	v_add_f16_e32 v140, v174, v140
	v_fmac_f16_e32 v176, 0xbbf1, v115
	v_fma_f16 v120, v103, 0x388b, -v171
	v_add_f16_e32 v115, v150, v144
	v_fmac_f16_e32 v132, 0x3bf1, v119
	v_add_f16_e32 v21, v29, v21
	v_sub_f16_e32 v26, v114, v26
	v_add_f16_e32 v23, v27, v23
	v_add_f16_e32 v27, v28, v31
	;; [unrolled: 1-line block ×4, first 2 shown]
	v_fmac_f16_e32 v178, 0x33a8, v119
	v_fmac_f16_e32 v167, 0xb94e, v109
	v_add_f16_e32 v113, v120, v113
	v_add_f16_e32 v111, v132, v115
	v_fmac_f16_e32 v131, 0x3770, v109
	v_fma_f16 v103, v104, 0xb9fd, -v172
	v_fma_f16 v96, v104, 0x3b15, -v158
	v_add_f16_e32 v29, v101, v129
	v_add_f16_e32 v21, v26, v21
	;; [unrolled: 1-line block ×3, first 2 shown]
	v_mov_b32_e32 v24, 0x9c
	v_add_f16_e32 v26, v28, v81
	v_sub_f16_e32 v25, v75, v25
	v_fmac_f16_e32 v195, 0xbb7b, v109
	v_fma_f16 v141, v104, 0xb5ac, -v198
	v_add_f16_e32 v140, v178, v140
	v_fmac_f16_e32 v181, 0x3a95, v109
	v_fma_f16 v116, v104, 0x388b, -v186
	v_add_f16_e32 v112, v167, v143
	v_add_f16_e32 v97, v131, v111
	;; [unrolled: 1-line block ×4, first 2 shown]
	v_mul_u32_u24_sdwa v23, v56, v24 dst_sel:DWORD dst_unused:UNUSED_PAD src0_sel:WORD_0 src1_sel:DWORD
	v_add_f16_e32 v24, v26, v82
	v_add_f16_e32 v21, v25, v21
	;; [unrolled: 1-line block ×4, first 2 shown]
	v_fma_f16 v138, v104, 0x2fb7, -v138
	v_add_f16_e32 v137, v195, v137
	v_add_f16_e32 v140, v181, v140
	v_add_lshl_u32 v23, v23, v55, 2
	v_pack_b32_f16 v22, v22, v24
	v_pack_b32_f16 v21, v21, v27
	;; [unrolled: 1-line block ×4, first 2 shown]
	v_add_f16_e32 v26, v116, v136
	v_add_f16_e32 v27, v141, v135
	;; [unrolled: 1-line block ×4, first 2 shown]
	ds_write2_b32 v23, v22, v21 offset1:12
	ds_write2_b32 v23, v24, v25 offset0:24 offset1:36
	v_pack_b32_f16 v21, v26, v140
	v_pack_b32_f16 v22, v27, v137
	;; [unrolled: 1-line block ×8, first 2 shown]
	v_perm_b32 v30, v77, v76, 0x5040100
	ds_write2_b32 v23, v21, v22 offset0:48 offset1:60
	ds_write2_b32 v23, v24, v25 offset0:72 offset1:84
	;; [unrolled: 1-line block ×4, first 2 shown]
	ds_write_b32 v23, v30 offset:576
.LBB0_5:
	s_or_b32 exec_lo, exec_lo, s0
	v_add_co_u32 v23, s0, 0xffffffd9, v50
	v_add_co_ci_u32_e64 v24, null, 0, -1, s0
	v_lshrrev_b16 v25, 2, v33
	v_mov_b32_e32 v26, 0xd21
	v_cmp_gt_u16_e64 s0, 39, v50
	s_waitcnt lgkmcnt(0)
	s_barrier
	buffer_gl0_inv
	global_load_dwordx2 v[21:22], v36, s[14:15] offset:616
	v_cndmask_b32_e64 v30, v24, v35, s0
	v_mul_u32_u24_sdwa v24, v25, v26 dst_sel:DWORD dst_unused:UNUSED_PAD src0_sel:WORD_0 src1_sel:DWORD
	v_lshrrev_b16 v25, 2, v73
	v_cndmask_b32_e64 v29, v23, v34, s0
	v_add_nc_u32_e32 v80, 0x600, v54
	v_add_nc_u32_e32 v84, 0xe00, v54
	v_lshrrev_b32_e32 v32, 17, v24
	v_mul_u32_u24_sdwa v25, v25, v26 dst_sel:DWORD dst_unused:UNUSED_PAD src0_sel:WORD_0 src1_sel:DWORD
	v_lshlrev_b64 v[23:24], 3, v[29:30]
	v_add_nc_u32_e32 v81, 0x200, v54
	v_add_nc_u32_e32 v83, 0xa00, v54
	v_mul_lo_u16 v26, 0x9c, v32
	v_lshrrev_b32_e32 v25, 17, v25
	v_add_nc_u32_e32 v82, 0x1200, v54
	v_add_co_u32 v23, s0, s14, v23
	v_add_co_ci_u32_e64 v24, s0, s15, v24, s0
	v_mul_lo_u16 v25, 0x9c, v25
	v_sub_nc_u16 v75, v33, v26
	v_mov_b32_e32 v94, 2
	global_load_dwordx2 v[27:28], v[23:24], off offset:616
	v_lshlrev_b32_e32 v95, 2, v74
	v_sub_nc_u16 v93, v73, v25
	v_lshlrev_b16 v23, 3, v75
	v_mad_u16 v32, 0x1d4, v32, v75
	v_lshlrev_b16 v24, 3, v93
	v_and_b32_e32 v23, 0xffff, v23
	v_lshlrev_b32_sdwa v74, v94, v93 dst_sel:DWORD dst_unused:UNUSED_PAD src0_sel:DWORD src1_sel:WORD_0
	v_lshlrev_b32_sdwa v75, v94, v32 dst_sel:DWORD dst_unused:UNUSED_PAD src0_sel:DWORD src1_sel:WORD_0
	v_and_b32_e32 v25, 0xffff, v24
	v_add_co_u32 v23, s0, s14, v23
	v_add_co_ci_u32_e64 v24, null, s15, 0, s0
	v_add_co_u32 v30, s0, s14, v25
	v_add_co_ci_u32_e64 v31, null, s15, 0, s0
	s_clause 0x1
	global_load_dwordx2 v[25:26], v[23:24], off offset:616
	global_load_dwordx2 v[23:24], v[30:31], off offset:616
	ds_read2_b32 v[30:31], v54 offset1:117
	ds_read2_b32 v[34:35], v80 offset0:84 offset1:201
	ds_read2_b32 v[85:86], v84 offset0:40 offset1:157
	;; [unrolled: 1-line block ×5, first 2 shown]
	v_cmp_lt_u16_e64 s0, 38, v50
	s_waitcnt vmcnt(0) lgkmcnt(0)
	s_barrier
	buffer_gl0_inv
	v_add_nc_u32_e32 v32, 0xe00, v74
	v_cndmask_b32_e64 v73, 0, 0x1d4, s0
	v_add_lshl_u32 v73, v29, v73, 2
	v_lshrrev_b32_e32 v97, 16, v34
	v_lshrrev_b32_e32 v98, 16, v85
	;; [unrolled: 1-line block ×12, first 2 shown]
	v_mul_f16_sdwa v94, v97, v21 dst_sel:DWORD dst_unused:UNUSED_PAD src0_sel:DWORD src1_sel:WORD_1
	v_mul_f16_sdwa v106, v98, v22 dst_sel:DWORD dst_unused:UNUSED_PAD src0_sel:DWORD src1_sel:WORD_1
	;; [unrolled: 1-line block ×4, first 2 shown]
	v_fma_f16 v34, v34, v21, -v94
	v_fma_f16 v85, v85, v22, -v106
	v_fmac_f16_e32 v107, v97, v21
	v_fmac_f16_e32 v108, v98, v22
	v_add_f16_e32 v97, v30, v34
	v_add_f16_e32 v94, v34, v85
	v_sub_f16_e32 v34, v34, v85
	v_add_f16_e32 v98, v107, v108
	v_sub_f16_e32 v106, v107, v108
	v_add_f16_e32 v107, v29, v107
	v_fma_f16 v30, -0.5, v94, v30
	v_add_f16_e32 v85, v97, v85
	v_fmac_f16_e32 v29, -0.5, v98
	v_add_f16_e32 v94, v107, v108
	v_fmamk_f16 v97, v106, 0x3aee, v30
	v_fmac_f16_e32 v30, 0xbaee, v106
	v_fmamk_f16 v98, v34, 0xbaee, v29
	v_fmac_f16_e32 v29, 0x3aee, v34
	v_pack_b32_f16 v34, v85, v94
	v_mul_f16_sdwa v85, v99, v27 dst_sel:DWORD dst_unused:UNUSED_PAD src0_sel:DWORD src1_sel:WORD_1
	v_mul_f16_sdwa v94, v35, v27 dst_sel:DWORD dst_unused:UNUSED_PAD src0_sel:DWORD src1_sel:WORD_1
	;; [unrolled: 1-line block ×4, first 2 shown]
	v_pack_b32_f16 v97, v97, v98
	v_pack_b32_f16 v29, v30, v29
	v_fma_f16 v30, v35, v27, -v85
	v_fmac_f16_e32 v94, v99, v27
	v_fma_f16 v35, v86, v28, -v106
	v_fmac_f16_e32 v107, v100, v28
	ds_write2_b32 v54, v34, v97 offset1:156
	ds_write_b32 v54, v29 offset:1248
	v_add_f16_e32 v29, v31, v30
	v_add_f16_e32 v86, v96, v94
	;; [unrolled: 1-line block ×3, first 2 shown]
	v_sub_f16_e32 v85, v94, v107
	v_add_f16_e32 v94, v94, v107
	v_sub_f16_e32 v30, v30, v35
	v_add_f16_e32 v29, v29, v35
	v_fmac_f16_e32 v31, -0.5, v34
	v_add_f16_e32 v34, v86, v107
	v_fmac_f16_e32 v96, -0.5, v94
	v_mul_f16_sdwa v35, v102, v25 dst_sel:DWORD dst_unused:UNUSED_PAD src0_sel:DWORD src1_sel:WORD_1
	v_mul_f16_sdwa v86, v89, v25 dst_sel:DWORD dst_unused:UNUSED_PAD src0_sel:DWORD src1_sel:WORD_1
	;; [unrolled: 1-line block ×8, first 2 shown]
	v_fmamk_f16 v107, v85, 0x3aee, v31
	v_fmac_f16_e32 v31, 0xbaee, v85
	v_fmamk_f16 v85, v30, 0xbaee, v96
	v_fmac_f16_e32 v96, 0x3aee, v30
	v_pack_b32_f16 v29, v29, v34
	v_fma_f16 v30, v89, v25, -v35
	v_fmac_f16_e32 v86, v102, v25
	v_fma_f16 v34, v91, v26, -v94
	v_fmac_f16_e32 v97, v103, v26
	;; [unrolled: 2-line block ×4, first 2 shown]
	v_pack_b32_f16 v85, v107, v85
	v_add_f16_e32 v90, v87, v30
	v_add_f16_e32 v91, v30, v34
	v_sub_f16_e32 v92, v86, v97
	v_add_f16_e32 v94, v101, v86
	v_add_f16_e32 v86, v86, v97
	;; [unrolled: 1-line block ×3, first 2 shown]
	v_sub_f16_e32 v100, v99, v106
	v_add_f16_e32 v102, v93, v99
	v_add_f16_e32 v99, v99, v106
	v_pack_b32_f16 v31, v31, v96
	v_sub_f16_e32 v30, v30, v34
	v_add_f16_e32 v96, v88, v35
	ds_write2_b32 v73, v29, v85 offset1:156
	v_add_f16_e32 v29, v90, v34
	v_fma_f16 v34, -0.5, v91, v87
	v_fmac_f16_e32 v101, -0.5, v86
	v_sub_f16_e32 v35, v35, v89
	v_fmac_f16_e32 v88, -0.5, v98
	v_fmac_f16_e32 v93, -0.5, v99
	v_add_f16_e32 v85, v94, v97
	v_add_f16_e32 v86, v96, v89
	v_fmamk_f16 v89, v92, 0x3aee, v34
	v_fmamk_f16 v90, v30, 0xbaee, v101
	v_fmac_f16_e32 v34, 0xbaee, v92
	v_fmac_f16_e32 v101, 0x3aee, v30
	v_add_f16_e32 v87, v102, v106
	v_fmamk_f16 v30, v100, 0x3aee, v88
	v_fmamk_f16 v91, v35, 0xbaee, v93
	v_fmac_f16_e32 v88, 0xbaee, v100
	v_fmac_f16_e32 v93, 0x3aee, v35
	v_pack_b32_f16 v29, v29, v85
	v_pack_b32_f16 v85, v89, v90
	;; [unrolled: 1-line block ×6, first 2 shown]
	ds_write_b32 v73, v31 offset:1248
	ds_write2_b32 v75, v29, v85 offset1:156
	ds_write_b32 v75, v34 offset:1248
	ds_write2_b32 v32, v35, v30 offset0:40 offset1:196
	ds_write_b32 v74, v86 offset:4992
	s_waitcnt lgkmcnt(0)
	s_barrier
	buffer_gl0_inv
	global_load_dwordx2 v[35:36], v36, s[14:15] offset:1864
	v_lshlrev_b32_e32 v29, 3, v33
	s_clause 0x2
	global_load_dwordx2 v[33:34], v95, s[14:15] offset:1864
	global_load_dwordx2 v[31:32], v29, s[14:15] offset:1864
	;; [unrolled: 1-line block ×3, first 2 shown]
	ds_read2_b32 v[86:87], v54 offset1:117
	ds_read2_b32 v[88:89], v80 offset0:84 offset1:201
	ds_read2_b32 v[90:91], v84 offset0:40 offset1:157
	;; [unrolled: 1-line block ×5, first 2 shown]
	v_lshlrev_b32_e32 v85, 2, v50
	v_add_co_u32 v100, s0, s12, v85
	v_add_co_ci_u32_e64 v101, null, s13, 0, s0
	v_add_nc_u32_e32 v85, 0x800, v54
	v_add_co_u32 v98, s0, 0x1000, v100
	v_add_co_ci_u32_e64 v99, s0, 0, v101, s0
	s_waitcnt lgkmcnt(5)
	v_lshrrev_b32_e32 v102, 16, v86
	s_waitcnt lgkmcnt(4)
	v_lshrrev_b32_e32 v103, 16, v88
	;; [unrolled: 2-line block ×3, first 2 shown]
	v_lshrrev_b32_e32 v106, 16, v89
	v_lshrrev_b32_e32 v107, 16, v91
	s_waitcnt lgkmcnt(1)
	v_lshrrev_b32_e32 v109, 16, v94
	s_waitcnt lgkmcnt(0)
	v_lshrrev_b32_e32 v110, 16, v96
	v_lshrrev_b32_e32 v112, 16, v95
	;; [unrolled: 1-line block ×6, first 2 shown]
	s_waitcnt vmcnt(3)
	v_mul_f16_sdwa v114, v103, v35 dst_sel:DWORD dst_unused:UNUSED_PAD src0_sel:DWORD src1_sel:WORD_1
	v_mul_f16_sdwa v115, v88, v35 dst_sel:DWORD dst_unused:UNUSED_PAD src0_sel:DWORD src1_sel:WORD_1
	v_mul_f16_sdwa v116, v104, v36 dst_sel:DWORD dst_unused:UNUSED_PAD src0_sel:DWORD src1_sel:WORD_1
	v_mul_f16_sdwa v117, v90, v36 dst_sel:DWORD dst_unused:UNUSED_PAD src0_sel:DWORD src1_sel:WORD_1
	s_waitcnt vmcnt(2)
	v_mul_f16_sdwa v118, v106, v33 dst_sel:DWORD dst_unused:UNUSED_PAD src0_sel:DWORD src1_sel:WORD_1
	v_mul_f16_sdwa v119, v89, v33 dst_sel:DWORD dst_unused:UNUSED_PAD src0_sel:DWORD src1_sel:WORD_1
	v_mul_f16_sdwa v120, v107, v34 dst_sel:DWORD dst_unused:UNUSED_PAD src0_sel:DWORD src1_sel:WORD_1
	v_mul_f16_sdwa v121, v91, v34 dst_sel:DWORD dst_unused:UNUSED_PAD src0_sel:DWORD src1_sel:WORD_1
	;; [unrolled: 5-line block ×4, first 2 shown]
	v_fma_f16 v88, v88, v35, -v114
	v_fmac_f16_e32 v115, v103, v35
	v_fma_f16 v90, v90, v36, -v116
	v_fmac_f16_e32 v117, v104, v36
	;; [unrolled: 2-line block ×8, first 2 shown]
	v_add_f16_e32 v104, v88, v90
	v_add_f16_e32 v109, v115, v117
	v_sub_f16_e32 v106, v115, v117
	v_add_f16_e32 v107, v102, v115
	v_add_f16_e32 v112, v89, v91
	;; [unrolled: 1-line block ×6, first 2 shown]
	v_sub_f16_e32 v88, v88, v90
	v_add_f16_e32 v110, v87, v89
	v_sub_f16_e32 v113, v119, v121
	v_add_f16_e32 v114, v105, v119
	v_add_f16_e32 v116, v92, v94
	v_sub_f16_e32 v119, v123, v125
	v_add_f16_e32 v120, v108, v123
	v_add_f16_e32 v123, v93, v95
	;; [unrolled: 1-line block ×3, first 2 shown]
	v_sub_f16_e32 v126, v127, v129
	v_add_f16_e32 v128, v111, v127
	v_add_f16_e32 v127, v127, v129
	v_fma_f16 v86, -0.5, v104, v86
	v_fmac_f16_e32 v102, -0.5, v109
	v_sub_f16_e32 v89, v89, v91
	v_fmac_f16_e32 v87, -0.5, v112
	v_fmac_f16_e32 v105, -0.5, v115
	v_sub_f16_e32 v94, v94, v96
	v_fma_f16 v92, -0.5, v118, v92
	v_fmac_f16_e32 v108, -0.5, v122
	v_sub_f16_e32 v95, v95, v97
	v_add_f16_e32 v90, v103, v90
	v_add_f16_e32 v103, v107, v117
	;; [unrolled: 1-line block ×6, first 2 shown]
	v_fmac_f16_e32 v93, -0.5, v124
	v_add_f16_e32 v109, v128, v129
	v_fmac_f16_e32 v111, -0.5, v127
	v_fmamk_f16 v110, v106, 0x3aee, v86
	v_fmac_f16_e32 v86, 0xbaee, v106
	v_fmamk_f16 v106, v88, 0xbaee, v102
	v_fmac_f16_e32 v102, 0x3aee, v88
	v_add_f16_e32 v104, v114, v121
	v_fmamk_f16 v88, v113, 0x3aee, v87
	v_fmac_f16_e32 v87, 0xbaee, v113
	v_fmamk_f16 v112, v89, 0xbaee, v105
	v_fmac_f16_e32 v105, 0x3aee, v89
	;; [unrolled: 2-line block ×6, first 2 shown]
	v_pack_b32_f16 v95, v96, v107
	v_pack_b32_f16 v96, v97, v109
	;; [unrolled: 1-line block ×12, first 2 shown]
	ds_write_b32 v54, v97 offset:1872
	ds_write_b32 v54, v86 offset:3744
	ds_write2_b32 v54, v90, v91 offset1:117
	ds_write_b32 v54, v87 offset:4212
	ds_write2_b32 v85, v88, v89 offset0:73 offset1:190
	ds_write2_b32 v81, v95, v96 offset0:106 offset1:223
	ds_write_b32 v54, v94 offset:3276
	ds_write2_b32 v82, v92, v93 offset0:18 offset1:135
	s_waitcnt lgkmcnt(0)
	s_barrier
	buffer_gl0_inv
	global_load_dword v92, v[98:99], off offset:1520
	v_add_co_u32 v86, s0, 0x15f0, v100
	v_add_co_ci_u32_e64 v87, s0, 0, v101, s0
	v_add_co_u32 v88, s0, 0x2000, v100
	v_add_co_ci_u32_e64 v89, s0, 0, v101, s0
	global_load_dword v96, v[86:87], off offset:468
	v_add_co_u32 v90, s0, 0x2800, v100
	v_add_co_ci_u32_e64 v91, s0, 0, v101, s0
	s_clause 0x5
	global_load_dword v98, v[88:89], off offset:232
	global_load_dword v99, v[88:89], off offset:700
	;; [unrolled: 1-line block ×6, first 2 shown]
	v_add_co_u32 v88, s0, 0x1800, v100
	v_add_co_ci_u32_e64 v89, s0, 0, v101, s0
	s_clause 0x3
	global_load_dword v100, v[86:87], off offset:1872
	global_load_dword v101, v[90:91], off offset:56
	;; [unrolled: 1-line block ×4, first 2 shown]
	ds_read2_b32 v[86:87], v54 offset1:117
	v_add_nc_u32_e32 v110, 0x400, v54
	s_waitcnt lgkmcnt(0)
	v_lshrrev_b32_e32 v88, 16, v86
	v_lshrrev_b32_e32 v97, 16, v87
	s_waitcnt vmcnt(11)
	v_mul_f16_sdwa v89, v88, v92 dst_sel:DWORD dst_unused:UNUSED_PAD src0_sel:DWORD src1_sel:WORD_1
	v_mul_f16_sdwa v90, v86, v92 dst_sel:DWORD dst_unused:UNUSED_PAD src0_sel:DWORD src1_sel:WORD_1
	v_fma_f16 v86, v86, v92, -v89
	v_fmac_f16_e32 v90, v88, v92
	s_waitcnt vmcnt(10)
	v_mul_f16_sdwa v108, v87, v96 dst_sel:DWORD dst_unused:UNUSED_PAD src0_sel:DWORD src1_sel:WORD_1
	v_pack_b32_f16 v86, v86, v90
	v_fmac_f16_e32 v108, v97, v96
	ds_write_b32 v54, v86
	v_mul_f16_sdwa v86, v97, v96 dst_sel:DWORD dst_unused:UNUSED_PAD src0_sel:DWORD src1_sel:WORD_1
	ds_read2_b32 v[88:89], v83 offset0:62 offset1:179
	ds_read2_b32 v[90:91], v81 offset0:106 offset1:223
	ds_read2_b32 v[92:93], v84 offset0:40 offset1:157
	ds_read2_b32 v[94:95], v80 offset0:84 offset1:201
	v_fma_f16 v109, v87, v96, -v86
	ds_read2_b32 v[96:97], v82 offset0:18 offset1:135
	v_add_nc_u32_e32 v87, 0xc00, v54
	v_add_nc_u32_e32 v86, 0x1000, v54
	v_pack_b32_f16 v108, v109, v108
	s_waitcnt lgkmcnt(4)
	v_lshrrev_b32_e32 v109, 16, v88
	s_waitcnt vmcnt(9)
	v_mul_f16_sdwa v111, v88, v98 dst_sel:DWORD dst_unused:UNUSED_PAD src0_sel:DWORD src1_sel:WORD_1
	v_lshrrev_b32_e32 v112, 16, v89
	s_waitcnt vmcnt(8)
	v_mul_f16_sdwa v113, v89, v99 dst_sel:DWORD dst_unused:UNUSED_PAD src0_sel:DWORD src1_sel:WORD_1
	s_waitcnt lgkmcnt(3)
	v_lshrrev_b32_e32 v114, 16, v90
	s_waitcnt vmcnt(7)
	v_mul_f16_sdwa v115, v90, v102 dst_sel:DWORD dst_unused:UNUSED_PAD src0_sel:DWORD src1_sel:WORD_1
	s_waitcnt lgkmcnt(2)
	v_lshrrev_b32_e32 v116, 16, v92
	s_waitcnt vmcnt(6)
	v_mul_f16_sdwa v117, v92, v103 dst_sel:DWORD dst_unused:UNUSED_PAD src0_sel:DWORD src1_sel:WORD_1
	v_lshrrev_b32_e32 v118, 16, v91
	s_waitcnt vmcnt(5)
	v_mul_f16_sdwa v119, v91, v104 dst_sel:DWORD dst_unused:UNUSED_PAD src0_sel:DWORD src1_sel:WORD_1
	;; [unrolled: 3-line block ×3, first 2 shown]
	s_waitcnt lgkmcnt(1)
	v_lshrrev_b32_e32 v122, 16, v94
	s_waitcnt vmcnt(3)
	v_mul_f16_sdwa v123, v94, v100 dst_sel:DWORD dst_unused:UNUSED_PAD src0_sel:DWORD src1_sel:WORD_1
	s_waitcnt lgkmcnt(0)
	v_lshrrev_b32_e32 v124, 16, v96
	s_waitcnt vmcnt(2)
	v_mul_f16_sdwa v125, v96, v101 dst_sel:DWORD dst_unused:UNUSED_PAD src0_sel:DWORD src1_sel:WORD_1
	v_lshrrev_b32_e32 v126, 16, v95
	s_waitcnt vmcnt(1)
	v_mul_f16_sdwa v127, v95, v106 dst_sel:DWORD dst_unused:UNUSED_PAD src0_sel:DWORD src1_sel:WORD_1
	v_lshrrev_b32_e32 v128, 16, v97
	v_mul_f16_sdwa v130, v109, v98 dst_sel:DWORD dst_unused:UNUSED_PAD src0_sel:DWORD src1_sel:WORD_1
	v_fmac_f16_e32 v111, v109, v98
	v_mul_f16_sdwa v109, v112, v99 dst_sel:DWORD dst_unused:UNUSED_PAD src0_sel:DWORD src1_sel:WORD_1
	v_fmac_f16_e32 v113, v112, v99
	;; [unrolled: 2-line block ×7, first 2 shown]
	v_mul_f16_sdwa v122, v124, v101 dst_sel:DWORD dst_unused:UNUSED_PAD src0_sel:DWORD src1_sel:WORD_1
	s_waitcnt vmcnt(0)
	v_mul_f16_sdwa v129, v97, v107 dst_sel:DWORD dst_unused:UNUSED_PAD src0_sel:DWORD src1_sel:WORD_1
	v_fmac_f16_e32 v125, v124, v101
	v_mul_f16_sdwa v124, v126, v106 dst_sel:DWORD dst_unused:UNUSED_PAD src0_sel:DWORD src1_sel:WORD_1
	v_fmac_f16_e32 v127, v126, v106
	v_mul_f16_sdwa v126, v128, v107 dst_sel:DWORD dst_unused:UNUSED_PAD src0_sel:DWORD src1_sel:WORD_1
	v_fma_f16 v90, v90, v102, -v112
	v_fma_f16 v89, v89, v99, -v109
	;; [unrolled: 1-line block ×7, first 2 shown]
	v_fmac_f16_e32 v129, v128, v107
	v_fma_f16 v88, v88, v98, -v130
	v_fma_f16 v95, v95, v106, -v124
	;; [unrolled: 1-line block ×3, first 2 shown]
	v_pack_b32_f16 v90, v90, v115
	v_pack_b32_f16 v89, v89, v113
	;; [unrolled: 1-line block ×10, first 2 shown]
	ds_write2_b32 v54, v108, v90 offset0:117 offset1:234
	ds_write2_b32 v87, v89, v92 offset0:51 offset1:168
	;; [unrolled: 1-line block ×5, first 2 shown]
	ds_write_b32 v54, v97 offset:5148
	s_waitcnt lgkmcnt(0)
	s_barrier
	buffer_gl0_inv
	ds_read2_b32 v[88:89], v54 offset1:117
	ds_read2_b32 v[90:91], v83 offset0:62 offset1:179
	ds_read2_b32 v[92:93], v81 offset0:106 offset1:223
	;; [unrolled: 1-line block ×5, first 2 shown]
	s_waitcnt lgkmcnt(0)
	s_barrier
	buffer_gl0_inv
	v_pk_add_f16 v100, v88, v90 neg_lo:[0,1] neg_hi:[0,1]
	v_pk_add_f16 v90, v89, v91 neg_lo:[0,1] neg_hi:[0,1]
	;; [unrolled: 1-line block ×6, first 2 shown]
	v_pk_fma_f16 v99, v88, 2.0, v100 op_sel_hi:[1,0,1] neg_lo:[0,0,1] neg_hi:[0,0,1]
	v_pk_fma_f16 v89, v89, 2.0, v90 op_sel_hi:[1,0,1] neg_lo:[0,0,1] neg_hi:[0,0,1]
	;; [unrolled: 1-line block ×6, first 2 shown]
	ds_write_b64 v61, v[99:100]
	ds_write_b64 v60, v[89:90]
	;; [unrolled: 1-line block ×6, first 2 shown]
	s_waitcnt lgkmcnt(0)
	s_barrier
	buffer_gl0_inv
	ds_read2_b32 v[59:60], v54 offset1:117
	ds_read2_b32 v[61:62], v83 offset0:62 offset1:179
	ds_read2_b32 v[78:79], v81 offset0:106 offset1:223
	;; [unrolled: 1-line block ×5, first 2 shown]
	s_waitcnt lgkmcnt(0)
	s_barrier
	buffer_gl0_inv
	v_lshrrev_b32_e32 v94, 16, v59
	v_lshrrev_b32_e32 v95, 16, v61
	;; [unrolled: 1-line block ×3, first 2 shown]
	v_mul_f16_sdwa v106, v37, v61 dst_sel:DWORD dst_unused:UNUSED_PAD src0_sel:WORD_1 src1_sel:DWORD
	v_lshrrev_b32_e32 v99, 16, v88
	v_lshrrev_b32_e32 v103, 16, v92
	v_mul_f16_sdwa v107, v38, v62 dst_sel:DWORD dst_unused:UNUSED_PAD src0_sel:WORD_1 src1_sel:DWORD
	v_mul_f16_sdwa v108, v37, v88 dst_sel:DWORD dst_unused:UNUSED_PAD src0_sel:WORD_1 src1_sel:DWORD
	v_lshrrev_b32_e32 v101, 16, v89
	v_lshrrev_b32_e32 v105, 16, v93
	v_mul_f16_sdwa v112, v37, v95 dst_sel:DWORD dst_unused:UNUSED_PAD src0_sel:WORD_1 src1_sel:DWORD
	v_fma_f16 v95, v37, v95, -v106
	v_mul_f16_sdwa v106, v38, v97 dst_sel:DWORD dst_unused:UNUSED_PAD src0_sel:WORD_1 src1_sel:DWORD
	v_mul_f16_sdwa v110, v37, v92 dst_sel:DWORD dst_unused:UNUSED_PAD src0_sel:WORD_1 src1_sel:DWORD
	v_fma_f16 v97, v57, v97, -v107
	v_mul_f16_sdwa v107, v37, v99 dst_sel:DWORD dst_unused:UNUSED_PAD src0_sel:WORD_1 src1_sel:DWORD
	v_fma_f16 v99, v37, v99, -v108
	v_mul_f16_sdwa v108, v37, v103 dst_sel:DWORD dst_unused:UNUSED_PAD src0_sel:WORD_1 src1_sel:DWORD
	v_mul_f16_e32 v109, v39, v89
	v_mul_f16_e32 v39, v39, v101
	;; [unrolled: 1-line block ×4, first 2 shown]
	v_fmac_f16_e32 v112, v37, v61
	v_lshrrev_b32_e32 v96, 16, v60
	v_fmac_f16_e32 v106, v57, v62
	v_lshrrev_b32_e32 v98, 16, v78
	v_fma_f16 v103, v37, v103, -v110
	v_fmac_f16_e32 v107, v37, v88
	v_fmac_f16_e32 v108, v37, v92
	v_sub_f16_e32 v37, v94, v95
	v_lshrrev_b32_e32 v100, 16, v79
	v_fma_f16 v101, v40, v101, -v109
	v_fmac_f16_e32 v39, v40, v89
	v_lshrrev_b32_e32 v102, 16, v90
	v_lshrrev_b32_e32 v104, 16, v91
	v_fma_f16 v105, v38, v105, -v111
	v_fmac_f16_e32 v58, v38, v93
	v_sub_f16_e32 v88, v59, v112
	v_sub_f16_e32 v38, v96, v97
	;; [unrolled: 1-line block ×4, first 2 shown]
	v_fma_f16 v89, v94, 2.0, -v37
	v_sub_f16_e32 v94, v78, v107
	v_sub_f16_e32 v57, v100, v101
	;; [unrolled: 1-line block ×7, first 2 shown]
	v_fma_f16 v59, v59, 2.0, -v88
	v_fma_f16 v93, v96, 2.0, -v38
	v_fma_f16 v60, v60, 2.0, -v92
	v_fma_f16 v95, v98, 2.0, -v40
	v_fma_f16 v78, v78, 2.0, -v94
	v_fma_f16 v96, v100, 2.0, -v57
	v_fma_f16 v79, v79, 2.0, -v39
	v_fma_f16 v98, v102, 2.0, -v61
	v_fma_f16 v99, v104, 2.0, -v62
	v_fma_f16 v90, v90, 2.0, -v97
	v_fma_f16 v91, v91, 2.0, -v58
	v_pack_b32_f16 v37, v88, v37
	v_pack_b32_f16 v59, v59, v89
	v_pack_b32_f16 v38, v92, v38
	v_pack_b32_f16 v60, v60, v93
	v_pack_b32_f16 v40, v94, v40
	v_pack_b32_f16 v39, v39, v57
	v_pack_b32_f16 v57, v97, v61
	v_pack_b32_f16 v61, v78, v95
	v_pack_b32_f16 v58, v58, v62
	v_pack_b32_f16 v62, v79, v96
	v_pack_b32_f16 v78, v90, v98
	v_pack_b32_f16 v79, v91, v99
	ds_write2_b32 v63, v59, v37 offset1:2
	ds_write2_b32 v64, v60, v38 offset1:2
	;; [unrolled: 1-line block ×6, first 2 shown]
	s_waitcnt lgkmcnt(0)
	s_barrier
	buffer_gl0_inv
	ds_read2_b32 v[37:38], v54 offset1:117
	ds_read2_b32 v[57:58], v80 offset0:84 offset1:201
	ds_read2_b32 v[59:60], v84 offset0:40 offset1:157
	;; [unrolled: 1-line block ×5, first 2 shown]
	s_waitcnt lgkmcnt(0)
	s_barrier
	buffer_gl0_inv
	v_lshrrev_b32_e32 v66, 16, v38
	v_lshrrev_b32_e32 v63, 16, v57
	;; [unrolled: 1-line block ×3, first 2 shown]
	v_mul_f16_sdwa v91, v13, v57 dst_sel:DWORD dst_unused:UNUSED_PAD src0_sel:WORD_1 src1_sel:DWORD
	v_lshrrev_b32_e32 v82, 16, v58
	v_lshrrev_b32_e32 v83, 16, v60
	v_mul_f16_sdwa v92, v14, v59 dst_sel:DWORD dst_unused:UNUSED_PAD src0_sel:WORD_1 src1_sel:DWORD
	v_mul_f16_sdwa v93, v15, v58 dst_sel:DWORD dst_unused:UNUSED_PAD src0_sel:WORD_1 src1_sel:DWORD
	v_lshrrev_b32_e32 v84, 16, v61
	v_lshrrev_b32_e32 v88, 16, v78
	v_mul_f16_sdwa v94, v16, v60 dst_sel:DWORD dst_unused:UNUSED_PAD src0_sel:WORD_1 src1_sel:DWORD
	;; [unrolled: 4-line block ×3, first 2 shown]
	v_mul_f16_sdwa v97, v19, v62 dst_sel:DWORD dst_unused:UNUSED_PAD src0_sel:WORD_1 src1_sel:DWORD
	v_mul_f16_sdwa v99, v13, v63 dst_sel:DWORD dst_unused:UNUSED_PAD src0_sel:WORD_1 src1_sel:DWORD
	v_fma_f16 v63, v13, v63, -v91
	v_mul_f16_sdwa v91, v14, v68 dst_sel:DWORD dst_unused:UNUSED_PAD src0_sel:WORD_1 src1_sel:DWORD
	v_fma_f16 v68, v14, v68, -v92
	;; [unrolled: 2-line block ×5, first 2 shown]
	v_mul_f16_sdwa v95, v18, v88 dst_sel:DWORD dst_unused:UNUSED_PAD src0_sel:WORD_1 src1_sel:DWORD
	v_lshrrev_b32_e32 v64, 16, v37
	v_mul_f16_sdwa v98, v20, v79 dst_sel:DWORD dst_unused:UNUSED_PAD src0_sel:WORD_1 src1_sel:DWORD
	v_fma_f16 v88, v18, v88, -v96
	v_mul_f16_sdwa v96, v19, v89 dst_sel:DWORD dst_unused:UNUSED_PAD src0_sel:WORD_1 src1_sel:DWORD
	v_fma_f16 v89, v19, v89, -v97
	v_mul_f16_sdwa v97, v20, v90 dst_sel:DWORD dst_unused:UNUSED_PAD src0_sel:WORD_1 src1_sel:DWORD
	v_fmac_f16_e32 v99, v13, v57
	v_fmac_f16_e32 v91, v14, v59
	v_lshrrev_b32_e32 v67, 16, v39
	v_fmac_f16_e32 v92, v15, v58
	v_fmac_f16_e32 v93, v16, v60
	;; [unrolled: 1-line block ×4, first 2 shown]
	v_add_f16_e32 v15, v66, v82
	v_add_f16_e32 v17, v82, v83
	v_lshrrev_b32_e32 v65, 16, v40
	v_fma_f16 v90, v20, v90, -v98
	v_fmac_f16_e32 v96, v19, v62
	v_fmac_f16_e32 v97, v20, v79
	v_sub_f16_e32 v16, v63, v68
	v_add_f16_e32 v13, v64, v63
	v_add_f16_e32 v14, v63, v68
	;; [unrolled: 1-line block ×4, first 2 shown]
	v_sub_f16_e32 v60, v84, v88
	v_add_f16_e32 v18, v67, v84
	v_add_f16_e32 v84, v92, v93
	v_sub_f16_e32 v58, v82, v83
	v_add_f16_e32 v78, v15, v83
	v_fmac_f16_e32 v66, -0.5, v17
	v_sub_f16_e32 v15, v92, v93
	v_add_f16_e32 v17, v39, v94
	v_add_f16_e32 v83, v94, v95
	v_sub_f16_e32 v61, v89, v90
	v_add_f16_e32 v20, v65, v89
	v_add_f16_e32 v59, v89, v90
	;; [unrolled: 1-line block ×3, first 2 shown]
	v_fmac_f16_e32 v64, -0.5, v14
	v_sub_f16_e32 v14, v99, v91
	v_fmac_f16_e32 v67, -0.5, v19
	v_add_f16_e32 v89, v96, v97
	v_fma_f16 v19, -0.5, v63, v37
	v_add_f16_e32 v79, v38, v92
	v_fmac_f16_e32 v38, -0.5, v84
	v_add_f16_e32 v57, v13, v68
	v_add_f16_e32 v68, v18, v88
	v_sub_f16_e32 v18, v94, v95
	v_fmamk_f16 v84, v15, 0x3aee, v66
	v_fmac_f16_e32 v66, 0xbaee, v15
	v_add_f16_e32 v15, v17, v95
	v_fma_f16 v17, -0.5, v83, v39
	v_add_f16_e32 v88, v40, v96
	v_add_f16_e32 v82, v20, v90
	v_fmac_f16_e32 v65, -0.5, v59
	v_sub_f16_e32 v90, v96, v97
	v_add_f16_e32 v13, v62, v91
	v_fmamk_f16 v59, v14, 0x3aee, v64
	v_fmac_f16_e32 v64, 0xbaee, v14
	v_fmac_f16_e32 v40, -0.5, v89
	v_fmamk_f16 v14, v16, 0xbaee, v19
	v_fmac_f16_e32 v19, 0x3aee, v16
	v_add_f16_e32 v20, v79, v93
	v_fmamk_f16 v37, v58, 0xbaee, v38
	v_fmac_f16_e32 v38, 0x3aee, v58
	v_fmamk_f16 v79, v18, 0x3aee, v67
	v_fmamk_f16 v16, v60, 0xbaee, v17
	v_fmac_f16_e32 v67, 0xbaee, v18
	v_add_f16_e32 v18, v88, v97
	v_fmamk_f16 v88, v90, 0x3aee, v65
	v_fmac_f16_e32 v65, 0xbaee, v90
	v_fmac_f16_e32 v17, 0x3aee, v60
	v_fmamk_f16 v39, v61, 0xbaee, v40
	v_fmac_f16_e32 v40, 0x3aee, v61
	v_pack_b32_f16 v58, v13, v57
	v_pack_b32_f16 v63, v14, v59
	v_pack_b32_f16 v83, v19, v64
	v_pack_b32_f16 v60, v20, v78
	v_pack_b32_f16 v89, v37, v84
	v_pack_b32_f16 v90, v38, v66
	v_pack_b32_f16 v61, v15, v68
	v_pack_b32_f16 v91, v16, v79
	v_pack_b32_f16 v62, v18, v82
	v_pack_b32_f16 v92, v17, v67
	v_pack_b32_f16 v93, v39, v88
	v_pack_b32_f16 v94, v40, v65
	ds_write2_b32 v72, v58, v63 offset1:4
	ds_write_b32 v72, v83 offset:32
	ds_write2_b32 v71, v60, v89 offset1:4
	ds_write_b32 v71, v90 offset:32
	;; [unrolled: 2-line block ×4, first 2 shown]
	s_waitcnt lgkmcnt(0)
	s_barrier
	buffer_gl0_inv
	s_and_saveexec_b32 s0, vcc_lo
	s_cbranch_execz .LBB0_7
; %bb.6:
	ds_read2_b32 v[13:14], v54 offset1:108
	ds_read2_b32 v[19:20], v81 offset0:88 offset1:196
	ds_read2_b32 v[37:38], v80 offset0:48 offset1:156
	;; [unrolled: 1-line block ×5, first 2 shown]
	ds_read_b32 v76, v54 offset:5184
	s_waitcnt lgkmcnt(6)
	v_lshrrev_b32_e32 v57, 16, v13
	v_lshrrev_b32_e32 v59, 16, v14
	s_waitcnt lgkmcnt(5)
	v_lshrrev_b32_e32 v64, 16, v19
	v_lshrrev_b32_e32 v78, 16, v20
	;; [unrolled: 3-line block ×6, first 2 shown]
	s_waitcnt lgkmcnt(0)
	v_lshrrev_b32_e32 v77, 16, v76
.LBB0_7:
	s_or_b32 exec_lo, exec_lo, s0
	s_barrier
	buffer_gl0_inv
	s_and_saveexec_b32 s0, vcc_lo
	s_cbranch_execz .LBB0_9
; %bb.8:
	v_mul_f16_sdwa v60, v4, v59 dst_sel:DWORD dst_unused:UNUSED_PAD src0_sel:WORD_1 src1_sel:DWORD
	v_mul_f16_sdwa v58, v11, v77 dst_sel:DWORD dst_unused:UNUSED_PAD src0_sel:WORD_1 src1_sel:DWORD
	;; [unrolled: 1-line block ×5, first 2 shown]
	v_fmac_f16_e32 v60, v4, v14
	v_fmac_f16_e32 v58, v11, v76
	v_mul_f16_sdwa v14, v10, v65 dst_sel:DWORD dst_unused:UNUSED_PAD src0_sel:WORD_1 src1_sel:DWORD
	v_fma_f16 v11, v11, v77, -v61
	v_fma_f16 v61, v4, v59, -v63
	v_mul_f16_sdwa v4, v10, v40 dst_sel:DWORD dst_unused:UNUSED_PAD src0_sel:WORD_1 src1_sel:DWORD
	v_sub_f16_e32 v59, v60, v58
	v_fmac_f16_e32 v62, v5, v19
	v_fmac_f16_e32 v14, v10, v40
	v_mul_f16_sdwa v69, v5, v19 dst_sel:DWORD dst_unused:UNUSED_PAD src0_sel:WORD_1 src1_sel:DWORD
	v_add_f16_e32 v71, v11, v61
	v_mul_f16_e32 v83, 0xba95, v59
	v_mul_f16_sdwa v63, v6, v78 dst_sel:DWORD dst_unused:UNUSED_PAD src0_sel:WORD_1 src1_sel:DWORD
	v_sub_f16_e32 v40, v62, v14
	v_fma_f16 v4, v10, v65, -v4
	v_fma_f16 v64, v5, v64, -v69
	v_mul_f16_sdwa v19, v9, v88 dst_sel:DWORD dst_unused:UNUSED_PAD src0_sel:WORD_1 src1_sel:DWORD
	v_fmamk_f16 v70, v71, 0x388b, v83
	v_fmac_f16_e32 v63, v6, v20
	v_mul_f16_sdwa v5, v9, v39 dst_sel:DWORD dst_unused:UNUSED_PAD src0_sel:WORD_1 src1_sel:DWORD
	v_mul_f16_sdwa v20, v6, v20 dst_sel:DWORD dst_unused:UNUSED_PAD src0_sel:WORD_1 src1_sel:DWORD
	v_mul_f16_e32 v91, 0xbb7b, v40
	v_add_f16_e32 v77, v4, v64
	v_fmac_f16_e32 v19, v9, v39
	v_fma_f16 v5, v9, v88, -v5
	v_fma_f16 v20, v6, v78, -v20
	v_add_f16_e32 v6, v57, v70
	v_fmamk_f16 v65, v77, 0xb5ac, v91
	v_mul_f16_sdwa v39, v7, v84 dst_sel:DWORD dst_unused:UNUSED_PAD src0_sel:WORD_1 src1_sel:DWORD
	v_mul_f16_sdwa v9, v8, v82 dst_sel:DWORD dst_unused:UNUSED_PAD src0_sel:WORD_1 src1_sel:DWORD
	v_sub_f16_e32 v10, v63, v19
	v_mul_f16_sdwa v72, v7, v37 dst_sel:DWORD dst_unused:UNUSED_PAD src0_sel:WORD_1 src1_sel:DWORD
	v_add_f16_e32 v69, v65, v6
	v_fmac_f16_e32 v39, v7, v37
	v_fmac_f16_e32 v9, v8, v18
	v_mul_f16_sdwa v65, v8, v18 dst_sel:DWORD dst_unused:UNUSED_PAD src0_sel:WORD_1 src1_sel:DWORD
	v_mul_f16_sdwa v37, v0, v66 dst_sel:DWORD dst_unused:UNUSED_PAD src0_sel:WORD_1 src1_sel:DWORD
	;; [unrolled: 1-line block ×3, first 2 shown]
	v_mul_f16_e32 v88, 0xb3a8, v10
	v_add_f16_e32 v78, v5, v20
	v_sub_f16_e32 v6, v39, v9
	v_fma_f16 v8, v8, v82, -v65
	v_fma_f16 v65, v7, v84, -v72
	v_fmac_f16_e32 v37, v0, v38
	v_fmac_f16_e32 v18, v3, v17
	v_mul_f16_sdwa v17, v3, v17 dst_sel:DWORD dst_unused:UNUSED_PAD src0_sel:WORD_1 src1_sel:DWORD
	v_mul_f16_sdwa v38, v0, v38 dst_sel:DWORD dst_unused:UNUSED_PAD src0_sel:WORD_1 src1_sel:DWORD
	v_fmamk_f16 v70, v78, 0xbbc4, v88
	v_mul_f16_e32 v94, 0x394e, v6
	v_add_f16_e32 v85, v8, v65
	v_sub_f16_e32 v7, v37, v18
	v_fma_f16 v3, v3, v67, -v17
	v_fma_f16 v38, v0, v66, -v38
	v_add_f16_e32 v0, v70, v69
	v_fmamk_f16 v17, v85, 0xb9fd, v94
	v_mul_f16_e32 v93, 0x3bf1, v7
	v_sub_f16_e32 v92, v61, v11
	v_add_f16_e32 v76, v3, v38
	v_mul_f16_sdwa v67, v1, v68 dst_sel:DWORD dst_unused:UNUSED_PAD src0_sel:WORD_1 src1_sel:DWORD
	v_add_f16_e32 v0, v17, v0
	v_mul_f16_sdwa v66, v2, v79 dst_sel:DWORD dst_unused:UNUSED_PAD src0_sel:WORD_1 src1_sel:DWORD
	v_mul_f16_e32 v97, 0xba95, v92
	v_fmamk_f16 v17, v76, 0x2fb7, v93
	v_sub_f16_e32 v86, v64, v4
	v_fmac_f16_e32 v67, v1, v15
	v_fmac_f16_e32 v66, v2, v16
	v_mul_f16_sdwa v16, v2, v16 dst_sel:DWORD dst_unused:UNUSED_PAD src0_sel:WORD_1 src1_sel:DWORD
	v_add_f16_e32 v69, v17, v0
	v_add_f16_e32 v17, v58, v60
	v_mul_f16_sdwa v70, v1, v15 dst_sel:DWORD dst_unused:UNUSED_PAD src0_sel:WORD_1 src1_sel:DWORD
	v_add_f16_e32 v15, v14, v62
	v_mul_f16_e32 v98, 0xbb7b, v86
	v_sub_f16_e32 v82, v20, v5
	v_fma_f16 v80, v17, 0x388b, -v97
	v_sub_f16_e32 v0, v67, v66
	v_fma_f16 v72, v2, v79, -v16
	v_fma_f16 v79, v1, v68, -v70
	;; [unrolled: 1-line block ×3, first 2 shown]
	v_add_f16_e32 v1, v13, v80
	v_add_f16_e32 v2, v19, v63
	v_mul_f16_e32 v99, 0xb3a8, v82
	v_sub_f16_e32 v84, v65, v8
	v_mul_f16_e32 v96, 0x3770, v0
	v_add_f16_e32 v81, v72, v79
	v_add_f16_e32 v1, v16, v1
	v_fma_f16 v68, v2, 0xbbc4, -v99
	v_add_f16_e32 v16, v9, v39
	v_mul_f16_e32 v100, 0x394e, v84
	v_fmamk_f16 v70, v81, 0x3b15, v96
	v_sub_f16_e32 v87, v38, v3
	v_add_f16_e32 v80, v68, v1
	v_mul_f16_e32 v101, 0xbbf1, v59
	v_fma_f16 v89, v16, 0xb9fd, -v100
	v_add_f16_e32 v1, v70, v69
	v_add_f16_e32 v68, v18, v37
	v_mul_f16_e32 v102, 0x3bf1, v87
	v_sub_f16_e32 v90, v79, v72
	v_add_f16_e32 v70, v89, v80
	v_fmamk_f16 v80, v71, 0x2fb7, v101
	v_mul_f16_e32 v103, 0xb3a8, v40
	v_fma_f16 v89, v68, 0x2fb7, -v102
	v_add_f16_e32 v69, v66, v67
	v_mul_f16_e32 v104, 0x3770, v90
	v_add_f16_e32 v80, v57, v80
	v_fmamk_f16 v95, v77, 0xbbc4, v103
	v_mul_f16_e32 v105, 0x3b7b, v10
	v_add_f16_e32 v70, v89, v70
	v_fma_f16 v89, v69, 0x3b15, -v104
	v_mul_f16_e32 v106, 0xbbf1, v92
	v_add_f16_e32 v80, v95, v80
	v_fmamk_f16 v95, v78, 0xb5ac, v105
	v_mul_f16_e32 v107, 0x3770, v6
	v_add_f16_e32 v70, v89, v70
	v_fma_f16 v89, v17, 0x2fb7, -v106
	;; [unrolled: 6-line block ×14, first 2 shown]
	v_mul_f16_e32 v136, 0x3bf1, v86
	v_add_f16_e32 v118, v132, v118
	v_fmamk_f16 v132, v85, 0xbbc4, v135
	v_mul_f16_e32 v137, 0x3770, v7
	v_fma_f16 v83, v71, 0x388b, -v83
	v_add_f16_e32 v124, v13, v124
	v_fma_f16 v138, v15, 0x2fb7, -v136
	v_mul_f16_e32 v139, 0xba95, v82
	v_add_f16_e32 v118, v132, v118
	v_fmamk_f16 v132, v76, 0x3b15, v137
	v_mul_f16_e32 v140, 0xbb7b, v0
	v_add_f16_e32 v83, v57, v83
	v_fma_f16 v91, v77, 0xb5ac, -v91
	v_add_f16_e32 v60, v13, v60
	v_add_f16_e32 v124, v138, v124
	v_fma_f16 v138, v2, 0x388b, -v139
	v_mul_f16_e32 v141, 0x33a8, v84
	v_add_f16_e32 v118, v132, v118
	v_fmamk_f16 v132, v81, 0xb5ac, v140
	v_mul_f16_e32 v142, 0xb3a8, v59
	v_fmac_f16_e32 v97, 0x388b, v17
	v_add_f16_e32 v83, v91, v83
	v_fma_f16 v88, v78, 0xbbc4, -v88
	v_add_f16_e32 v60, v62, v60
	v_add_f16_e32 v61, v61, v57
	;; [unrolled: 1-line block ×3, first 2 shown]
	v_fma_f16 v138, v16, 0xbbc4, -v141
	v_mul_f16_e32 v143, 0x3770, v87
	v_add_f16_e32 v118, v132, v118
	v_fmamk_f16 v132, v71, 0xbbc4, v142
	v_mul_f16_e32 v144, 0x3770, v40
	v_fma_f16 v142, v71, 0xbbc4, -v142
	v_fma_f16 v128, v71, 0xb9fd, -v128
	;; [unrolled: 1-line block ×4, first 2 shown]
	v_add_f16_e32 v97, v13, v97
	v_fmac_f16_e32 v98, 0xb5ac, v15
	v_add_f16_e32 v83, v88, v83
	v_fma_f16 v88, v85, 0xb9fd, -v94
	v_mul_f16_e32 v71, 0x3b15, v71
	v_add_f16_e32 v60, v63, v60
	v_add_f16_e32 v61, v64, v61
	;; [unrolled: 1-line block ×3, first 2 shown]
	v_fma_f16 v138, v68, 0x3b15, -v143
	v_mul_f16_e32 v145, 0xbb7b, v90
	v_add_f16_e32 v132, v57, v132
	v_fmamk_f16 v146, v77, 0x3b15, v144
	v_mul_f16_e32 v147, 0xb94e, v10
	v_add_f16_e32 v142, v57, v142
	v_fma_f16 v144, v77, 0x3b15, -v144
	v_add_f16_e32 v128, v57, v128
	v_fma_f16 v130, v77, 0x2fb7, -v130
	;; [unrolled: 2-line block ×4, first 2 shown]
	v_add_f16_e32 v94, v98, v97
	v_fmac_f16_e32 v99, 0xbbc4, v2
	v_add_f16_e32 v83, v88, v83
	v_fmamk_f16 v88, v59, 0x3770, v71
	v_mul_f16_e32 v77, 0x388b, v77
	v_add_f16_e32 v39, v39, v60
	v_add_f16_e32 v20, v20, v61
	;; [unrolled: 1-line block ×3, first 2 shown]
	v_fma_f16 v138, v69, 0xb5ac, -v145
	v_mul_f16_e32 v148, 0xb3a8, v92
	v_add_f16_e32 v132, v146, v132
	v_fmamk_f16 v146, v78, 0xb9fd, v147
	v_mul_f16_e32 v149, 0x3a95, v6
	v_add_f16_e32 v142, v144, v142
	v_fma_f16 v144, v78, 0xb9fd, -v147
	v_add_f16_e32 v128, v130, v128
	v_fma_f16 v130, v78, 0x388b, -v133
	;; [unrolled: 2-line block ×4, first 2 shown]
	v_fma_f16 v93, v76, 0x2fb7, -v93
	v_add_f16_e32 v94, v99, v94
	v_fmac_f16_e32 v100, 0xb9fd, v16
	v_add_f16_e32 v88, v57, v88
	v_fmamk_f16 v97, v40, 0x3a95, v77
	v_mul_f16_e32 v78, 0x2fb7, v78
	v_add_f16_e32 v37, v37, v39
	v_add_f16_e32 v20, v65, v20
	v_add_f16_e32 v124, v138, v124
	v_fma_f16 v138, v17, 0xbbc4, -v148
	v_mul_f16_e32 v150, 0x3770, v86
	v_add_f16_e32 v132, v146, v132
	v_fmamk_f16 v146, v85, 0x388b, v149
	v_mul_f16_e32 v151, 0xbb7b, v7
	v_add_f16_e32 v142, v144, v142
	v_fma_f16 v144, v85, 0x388b, -v149
	v_add_f16_e32 v128, v130, v128
	v_fma_f16 v130, v85, 0xbbc4, -v135
	;; [unrolled: 2-line block ×4, first 2 shown]
	v_add_f16_e32 v83, v93, v83
	v_add_f16_e32 v93, v100, v94
	;; [unrolled: 1-line block ×3, first 2 shown]
	v_fmamk_f16 v94, v10, 0x3bf1, v78
	v_fma_f16 v96, v81, 0x3b15, -v96
	v_mul_f16_e32 v85, 0xb5ac, v85
	v_mul_f16_e32 v92, 0xb770, v92
	v_add_f16_e32 v37, v67, v37
	v_add_f16_e32 v20, v38, v20
	;; [unrolled: 1-line block ×3, first 2 shown]
	v_fma_f16 v152, v15, 0x3b15, -v150
	v_mul_f16_e32 v153, 0xb94e, v82
	v_add_f16_e32 v132, v146, v132
	v_fmamk_f16 v146, v76, 0xb5ac, v151
	v_mul_f16_e32 v154, 0x3bf1, v0
	v_add_f16_e32 v88, v94, v88
	v_fmamk_f16 v94, v6, 0x3b7b, v85
	v_add_f16_e32 v83, v96, v83
	v_fmamk_f16 v96, v17, 0x3b15, v92
	v_mul_f16_e32 v86, 0xba95, v86
	v_add_f16_e32 v37, v66, v37
	v_add_f16_e32 v20, v79, v20
	;; [unrolled: 1-line block ×3, first 2 shown]
	v_fma_f16 v152, v2, 0xb9fd, -v153
	v_mul_f16_e32 v155, 0x3a95, v84
	v_add_f16_e32 v132, v146, v132
	v_fmamk_f16 v146, v81, 0x2fb7, v154
	v_fmac_f16_e32 v106, 0x2fb7, v17
	v_add_f16_e32 v142, v144, v142
	v_fma_f16 v144, v76, 0xb5ac, -v151
	v_fmac_f16_e32 v134, 0xb9fd, v17
	v_add_f16_e32 v128, v130, v128
	v_fma_f16 v130, v76, 0x3b15, -v137
	;; [unrolled: 3-line block ×3, first 2 shown]
	v_add_f16_e32 v101, v103, v101
	v_fma_f16 v103, v76, 0x388b, -v109
	v_add_f16_e32 v88, v94, v88
	v_mul_f16_e32 v76, 0xb9fd, v76
	v_add_f16_e32 v62, v13, v96
	v_fmamk_f16 v94, v15, 0x388b, v86
	v_mul_f16_e32 v82, 0xbbf1, v82
	v_add_f16_e32 v18, v18, v37
	v_add_f16_e32 v20, v72, v20
	v_fmac_f16_e32 v71, 0xb770, v59
	v_add_f16_e32 v138, v152, v138
	v_fma_f16 v152, v16, 0x388b, -v155
	v_add_f16_e32 v132, v146, v132
	v_mul_f16_e32 v146, 0xbb7b, v87
	v_fmac_f16_e32 v148, 0xbbc4, v17
	v_add_f16_e32 v106, v13, v106
	v_fmac_f16_e32 v108, 0xbbc4, v15
	v_fma_f16 v17, v17, 0x3b15, -v92
	v_add_f16_e32 v134, v13, v134
	v_fmac_f16_e32 v136, 0x2fb7, v15
	v_add_f16_e32 v120, v13, v120
	v_fmac_f16_e32 v122, 0xb9fd, v15
	v_fmamk_f16 v63, v7, 0x394e, v76
	v_add_f16_e32 v62, v94, v62
	v_fmamk_f16 v64, v2, 0x2fb7, v82
	v_mul_f16_e32 v60, 0xbb7b, v84
	v_add_f16_e32 v9, v9, v18
	v_add_f16_e32 v3, v3, v20
	;; [unrolled: 1-line block ×3, first 2 shown]
	v_fmac_f16_e32 v77, 0xba95, v40
	v_add_f16_e32 v138, v152, v138
	v_fma_f16 v147, v68, 0xb5ac, -v146
	v_mul_f16_e32 v152, 0x3bf1, v90
	v_add_f16_e32 v148, v13, v148
	v_fmac_f16_e32 v150, 0x3b15, v15
	v_add_f16_e32 v106, v108, v106
	v_fmac_f16_e32 v111, 0xb5ac, v2
	v_add_f16_e32 v13, v13, v17
	v_fma_f16 v15, v15, 0x388b, -v86
	v_add_f16_e32 v134, v136, v134
	v_fmac_f16_e32 v139, 0x388b, v2
	v_add_f16_e32 v120, v122, v120
	v_fmac_f16_e32 v125, 0x3b15, v2
	v_add_f16_e32 v61, v63, v88
	v_add_f16_e32 v62, v64, v62
	v_fmamk_f16 v39, v16, 0xb5ac, v60
	v_mul_f16_e32 v63, 0xb94e, v87
	v_add_f16_e32 v3, v8, v3
	v_add_f16_e32 v8, v77, v18
	v_fmac_f16_e32 v78, 0xbbf1, v10
	v_add_f16_e32 v138, v147, v138
	v_fma_f16 v147, v69, 0x2fb7, -v152
	v_add_f16_e32 v148, v150, v148
	v_fmac_f16_e32 v153, 0xb9fd, v2
	v_add_f16_e32 v106, v111, v106
	v_fmac_f16_e32 v113, 0x3b15, v16
	v_add_f16_e32 v10, v15, v13
	v_fma_f16 v2, v2, 0x2fb7, -v82
	v_add_f16_e32 v134, v139, v134
	v_fmac_f16_e32 v141, 0xbbc4, v16
	v_add_f16_e32 v114, v116, v114
	v_add_f16_e32 v116, v125, v120
	v_fmac_f16_e32 v127, 0x2fb7, v16
	v_mul_f16_e32 v64, 0xbbc4, v81
	v_add_f16_e32 v39, v39, v62
	v_fmamk_f16 v38, v68, 0xb9fd, v63
	v_mul_f16_e32 v62, 0xb3a8, v90
	v_add_f16_e32 v9, v19, v9
	v_add_f16_e32 v3, v5, v3
	;; [unrolled: 1-line block ×3, first 2 shown]
	v_fmac_f16_e32 v85, 0xbb7b, v6
	v_add_f16_e32 v138, v147, v138
	v_add_f16_e32 v147, v153, v148
	v_fmac_f16_e32 v155, 0x388b, v16
	v_add_f16_e32 v106, v113, v106
	v_fmac_f16_e32 v115, 0x388b, v68
	v_fmac_f16_e32 v102, 0x2fb7, v68
	v_add_f16_e32 v2, v2, v10
	v_fma_f16 v8, v16, 0xb5ac, -v60
	v_add_f16_e32 v119, v141, v134
	v_fmac_f16_e32 v143, 0x3b15, v68
	v_add_f16_e32 v105, v127, v116
	v_fmac_f16_e32 v129, 0xbbc4, v68
	v_fmamk_f16 v65, v0, 0x33a8, v64
	v_add_f16_e32 v38, v38, v39
	v_fmamk_f16 v39, v69, 0xbbc4, v62
	v_add_f16_e32 v9, v14, v9
	v_add_f16_e32 v3, v4, v3
	;; [unrolled: 1-line block ×3, first 2 shown]
	v_mov_b32_e32 v5, 0x9c
	v_add_f16_e32 v147, v155, v147
	v_fmac_f16_e32 v146, 0xb5ac, v68
	v_add_f16_e32 v101, v103, v101
	v_fma_f16 v103, v81, 0xb9fd, -v112
	v_add_f16_e32 v91, v115, v106
	v_fmac_f16_e32 v117, 0xb9fd, v69
	v_add_f16_e32 v93, v102, v93
	v_fmac_f16_e32 v104, 0x3b15, v69
	v_fmac_f16_e32 v76, 0xb94e, v7
	v_add_f16_e32 v2, v8, v2
	v_fma_f16 v7, v68, 0xb9fd, -v63
	v_add_f16_e32 v128, v130, v128
	v_fma_f16 v130, v81, 0xb5ac, -v140
	v_add_f16_e32 v119, v143, v119
	v_fmac_f16_e32 v145, 0xb5ac, v69
	v_fma_f16 v120, v81, 0x388b, -v126
	v_add_f16_e32 v105, v129, v105
	v_fmac_f16_e32 v131, 0x388b, v69
	v_add_f16_e32 v37, v65, v61
	v_add_f16_e32 v38, v39, v38
	;; [unrolled: 1-line block ×4, first 2 shown]
	v_mul_u32_u24_sdwa v5, v56, v5 dst_sel:DWORD dst_unused:UNUSED_PAD src0_sel:WORD_0 src1_sel:DWORD
	v_add_f16_e32 v142, v144, v142
	v_fma_f16 v144, v81, 0x2fb7, -v154
	v_add_f16_e32 v133, v146, v147
	v_fmac_f16_e32 v152, 0x2fb7, v69
	v_add_f16_e32 v101, v103, v101
	v_add_f16_e32 v91, v117, v91
	;; [unrolled: 1-line block ×4, first 2 shown]
	v_fmac_f16_e32 v64, 0xb3a8, v0
	v_add_f16_e32 v0, v7, v2
	v_fma_f16 v2, v69, 0xbbc4, -v62
	v_add_f16_e32 v128, v130, v128
	v_add_f16_e32 v119, v145, v119
	;; [unrolled: 1-line block ×3, first 2 shown]
	v_add_lshl_u32 v5, v5, v55, 2
	v_pack_b32_f16 v3, v6, v3
	v_pack_b32_f16 v6, v38, v37
	v_add_f16_e32 v9, v131, v105
	v_add_f16_e32 v142, v144, v142
	;; [unrolled: 1-line block ×3, first 2 shown]
	v_pack_b32_f16 v7, v93, v83
	v_pack_b32_f16 v8, v91, v101
	v_add_f16_e32 v4, v64, v4
	v_add_f16_e32 v0, v2, v0
	ds_write2_b32 v5, v3, v6 offset1:12
	ds_write2_b32 v5, v7, v8 offset0:24 offset1:36
	v_pack_b32_f16 v2, v9, v107
	v_pack_b32_f16 v3, v119, v128
	;; [unrolled: 1-line block ×9, first 2 shown]
	ds_write2_b32 v5, v2, v3 offset0:48 offset1:60
	ds_write2_b32 v5, v6, v7 offset0:72 offset1:84
	;; [unrolled: 1-line block ×4, first 2 shown]
	ds_write_b32 v5, v0 offset:576
.LBB0_9:
	s_or_b32 exec_lo, exec_lo, s0
	v_add_nc_u32_e32 v1, 0x600, v54
	v_add_nc_u32_e32 v2, 0xe00, v54
	s_waitcnt lgkmcnt(0)
	s_barrier
	buffer_gl0_inv
	ds_read2_b32 v[5:6], v54 offset1:117
	ds_read2_b32 v[7:8], v1 offset0:84 offset1:201
	ds_read2_b32 v[9:10], v2 offset0:40 offset1:157
	v_add_nc_u32_e32 v3, 0x200, v54
	v_add_nc_u32_e32 v4, 0xa00, v54
	v_add_nc_u32_e32 v0, 0x1200, v54
	ds_read2_b32 v[13:14], v3 offset0:106 offset1:223
	ds_read2_b32 v[15:16], v4 offset0:62 offset1:179
	;; [unrolled: 1-line block ×3, first 2 shown]
	s_waitcnt lgkmcnt(0)
	s_barrier
	buffer_gl0_inv
	s_mov_b32 s4, 0xc201756d
	s_mov_b32 s5, 0x3f4756ca
	s_mul_i32 s7, s8, 0xfffff6dc
	v_lshrrev_b32_e32 v11, 16, v5
	v_lshrrev_b32_e32 v20, 16, v7
	;; [unrolled: 1-line block ×4, first 2 shown]
	v_mul_f16_sdwa v60, v21, v7 dst_sel:DWORD dst_unused:UNUSED_PAD src0_sel:WORD_1 src1_sel:DWORD
	v_lshrrev_b32_e32 v37, 16, v9
	v_mul_f16_sdwa v63, v21, v20 dst_sel:DWORD dst_unused:UNUSED_PAD src0_sel:WORD_1 src1_sel:DWORD
	v_lshrrev_b32_e32 v55, 16, v15
	v_lshrrev_b32_e32 v56, 16, v17
	v_fma_f16 v20, v21, v20, -v60
	v_mul_f16_sdwa v60, v27, v38 dst_sel:DWORD dst_unused:UNUSED_PAD src0_sel:WORD_1 src1_sel:DWORD
	v_fmac_f16_e32 v63, v21, v7
	v_mul_f16_sdwa v7, v28, v39 dst_sel:DWORD dst_unused:UNUSED_PAD src0_sel:WORD_1 src1_sel:DWORD
	v_lshrrev_b32_e32 v58, 16, v16
	v_mul_f16_sdwa v61, v22, v9 dst_sel:DWORD dst_unused:UNUSED_PAD src0_sel:WORD_1 src1_sel:DWORD
	v_mul_f16_sdwa v62, v27, v8 dst_sel:DWORD dst_unused:UNUSED_PAD src0_sel:WORD_1 src1_sel:DWORD
	;; [unrolled: 1-line block ×3, first 2 shown]
	v_fmac_f16_e32 v60, v27, v8
	v_mul_f16_sdwa v8, v28, v10 dst_sel:DWORD dst_unused:UNUSED_PAD src0_sel:WORD_1 src1_sel:DWORD
	v_mul_f16_sdwa v21, v25, v55 dst_sel:DWORD dst_unused:UNUSED_PAD src0_sel:WORD_1 src1_sel:DWORD
	v_fmac_f16_e32 v7, v28, v10
	v_mul_f16_sdwa v10, v25, v15 dst_sel:DWORD dst_unused:UNUSED_PAD src0_sel:WORD_1 src1_sel:DWORD
	v_lshrrev_b32_e32 v59, 16, v18
	v_fma_f16 v37, v22, v37, -v61
	v_fmac_f16_e32 v64, v22, v9
	v_mul_f16_sdwa v22, v26, v56 dst_sel:DWORD dst_unused:UNUSED_PAD src0_sel:WORD_1 src1_sel:DWORD
	v_fmac_f16_e32 v21, v25, v15
	v_mul_f16_sdwa v15, v26, v17 dst_sel:DWORD dst_unused:UNUSED_PAD src0_sel:WORD_1 src1_sel:DWORD
	v_fma_f16 v10, v25, v55, -v10
	v_mul_f16_sdwa v25, v23, v58 dst_sel:DWORD dst_unused:UNUSED_PAD src0_sel:WORD_1 src1_sel:DWORD
	v_fmac_f16_e32 v22, v26, v17
	v_mul_f16_sdwa v17, v23, v16 dst_sel:DWORD dst_unused:UNUSED_PAD src0_sel:WORD_1 src1_sel:DWORD
	v_fma_f16 v15, v26, v56, -v15
	;; [unrolled: 4-line block ×3, first 2 shown]
	v_add_f16_e32 v23, v63, v64
	v_fmac_f16_e32 v26, v24, v18
	v_fma_f16 v9, v27, v38, -v62
	v_fma_f16 v16, v24, v59, -v16
	v_add_f16_e32 v24, v20, v37
	v_fma_f16 v8, v28, v39, -v8
	v_add_f16_e32 v18, v5, v63
	v_fma_f16 v5, -0.5, v23, v5
	v_sub_f16_e32 v23, v20, v37
	v_add_f16_e32 v20, v11, v20
	v_fmac_f16_e32 v11, -0.5, v24
	v_sub_f16_e32 v24, v63, v64
	v_lshrrev_b32_e32 v19, 16, v6
	v_fmamk_f16 v27, v23, 0xbaee, v5
	v_fmac_f16_e32 v5, 0x3aee, v23
	v_add_f16_e32 v20, v20, v37
	v_add_f16_e32 v23, v60, v7
	v_fmamk_f16 v28, v24, 0x3aee, v11
	v_add_f16_e32 v37, v6, v60
	v_fmac_f16_e32 v11, 0xbaee, v24
	v_add_f16_e32 v24, v9, v8
	v_fmac_f16_e32 v6, -0.5, v23
	v_sub_f16_e32 v23, v9, v8
	v_add_f16_e32 v37, v37, v7
	v_add_f16_e32 v9, v19, v9
	v_fmac_f16_e32 v19, -0.5, v24
	v_sub_f16_e32 v7, v60, v7
	v_lshrrev_b32_e32 v40, 16, v13
	v_fmamk_f16 v24, v23, 0xbaee, v6
	v_fmac_f16_e32 v6, 0x3aee, v23
	v_add_f16_e32 v8, v9, v8
	v_add_f16_e32 v9, v21, v22
	v_fmamk_f16 v23, v7, 0x3aee, v19
	v_fmac_f16_e32 v19, 0xbaee, v7
	v_add_f16_e32 v7, v10, v15
	v_add_f16_e32 v38, v13, v21
	v_fma_f16 v9, -0.5, v9, v13
	v_sub_f16_e32 v13, v10, v15
	v_add_f16_e32 v10, v40, v10
	v_fmac_f16_e32 v40, -0.5, v7
	v_sub_f16_e32 v7, v21, v22
	v_lshrrev_b32_e32 v57, 16, v14
	v_fmamk_f16 v21, v13, 0xbaee, v9
	v_fmac_f16_e32 v9, 0x3aee, v13
	v_add_f16_e32 v10, v10, v15
	v_add_f16_e32 v13, v25, v26
	v_fmamk_f16 v15, v7, 0x3aee, v40
	v_fmac_f16_e32 v40, 0xbaee, v7
	v_add_f16_e32 v7, v17, v16
	v_add_f16_e32 v18, v18, v64
	;; [unrolled: 1-line block ×4, first 2 shown]
	v_fmac_f16_e32 v14, -0.5, v13
	v_sub_f16_e32 v13, v17, v16
	v_add_f16_e32 v17, v57, v17
	v_fmac_f16_e32 v57, -0.5, v7
	v_sub_f16_e32 v7, v25, v26
	v_pack_b32_f16 v5, v5, v11
	v_fmamk_f16 v25, v13, 0xbaee, v14
	v_fmac_f16_e32 v14, 0x3aee, v13
	v_add_f16_e32 v13, v17, v16
	v_fmamk_f16 v16, v7, 0x3aee, v57
	v_fmac_f16_e32 v57, 0xbaee, v7
	v_pack_b32_f16 v7, v18, v20
	v_pack_b32_f16 v17, v27, v28
	;; [unrolled: 1-line block ×4, first 2 shown]
	v_add_f16_e32 v22, v22, v26
	ds_write2_b32 v54, v7, v17 offset1:156
	ds_write_b32 v54, v5 offset:1248
	ds_write2_b32 v73, v8, v11 offset1:156
	v_pack_b32_f16 v5, v6, v19
	v_pack_b32_f16 v6, v38, v10
	;; [unrolled: 1-line block ×6, first 2 shown]
	v_add_nc_u32_e32 v11, 0xe00, v74
	v_pack_b32_f16 v13, v14, v57
	ds_write_b32 v73, v5 offset:1248
	ds_write2_b32 v75, v6, v7 offset1:156
	ds_write_b32 v75, v8 offset:1248
	ds_write2_b32 v11, v9, v10 offset0:40 offset1:196
	ds_write_b32 v74, v13 offset:4992
	s_waitcnt lgkmcnt(0)
	s_barrier
	buffer_gl0_inv
	ds_read2_b32 v[5:6], v54 offset1:117
	ds_read2_b32 v[7:8], v1 offset0:84 offset1:201
	ds_read2_b32 v[9:10], v2 offset0:40 offset1:157
	;; [unrolled: 1-line block ×5, first 2 shown]
	s_waitcnt lgkmcnt(5)
	v_lshrrev_b32_e32 v11, 16, v5
	s_waitcnt lgkmcnt(4)
	v_lshrrev_b32_e32 v19, 16, v7
	;; [unrolled: 2-line block ×3, first 2 shown]
	v_lshrrev_b32_e32 v22, 16, v8
	v_lshrrev_b32_e32 v23, 16, v10
	v_mul_f16_sdwa v38, v35, v7 dst_sel:DWORD dst_unused:UNUSED_PAD src0_sel:WORD_1 src1_sel:DWORD
	v_mul_f16_sdwa v28, v35, v19 dst_sel:DWORD dst_unused:UNUSED_PAD src0_sel:WORD_1 src1_sel:DWORD
	;; [unrolled: 1-line block ×3, first 2 shown]
	s_waitcnt lgkmcnt(1)
	v_lshrrev_b32_e32 v25, 16, v15
	s_waitcnt lgkmcnt(0)
	v_lshrrev_b32_e32 v26, 16, v17
	v_fma_f16 v19, v35, v19, -v38
	v_fmac_f16_e32 v28, v35, v7
	v_mul_f16_sdwa v7, v36, v9 dst_sel:DWORD dst_unused:UNUSED_PAD src0_sel:WORD_1 src1_sel:DWORD
	v_mul_f16_sdwa v35, v33, v22 dst_sel:DWORD dst_unused:UNUSED_PAD src0_sel:WORD_1 src1_sel:DWORD
	v_fmac_f16_e32 v40, v36, v9
	v_mul_f16_sdwa v9, v33, v8 dst_sel:DWORD dst_unused:UNUSED_PAD src0_sel:WORD_1 src1_sel:DWORD
	v_lshrrev_b32_e32 v37, 16, v16
	v_fma_f16 v7, v36, v20, -v7
	v_mul_f16_sdwa v20, v34, v23 dst_sel:DWORD dst_unused:UNUSED_PAD src0_sel:WORD_1 src1_sel:DWORD
	v_fmac_f16_e32 v35, v33, v8
	v_mul_f16_sdwa v8, v34, v10 dst_sel:DWORD dst_unused:UNUSED_PAD src0_sel:WORD_1 src1_sel:DWORD
	v_fma_f16 v9, v33, v22, -v9
	v_mul_f16_sdwa v22, v31, v25 dst_sel:DWORD dst_unused:UNUSED_PAD src0_sel:WORD_1 src1_sel:DWORD
	v_fmac_f16_e32 v20, v34, v10
	v_mul_f16_sdwa v10, v31, v15 dst_sel:DWORD dst_unused:UNUSED_PAD src0_sel:WORD_1 src1_sel:DWORD
	v_lshrrev_b32_e32 v39, 16, v18
	v_fma_f16 v8, v34, v23, -v8
	v_mul_f16_sdwa v23, v32, v26 dst_sel:DWORD dst_unused:UNUSED_PAD src0_sel:WORD_1 src1_sel:DWORD
	v_fmac_f16_e32 v22, v31, v15
	v_mul_f16_sdwa v15, v32, v17 dst_sel:DWORD dst_unused:UNUSED_PAD src0_sel:WORD_1 src1_sel:DWORD
	v_fma_f16 v10, v31, v25, -v10
	v_mul_f16_sdwa v25, v29, v37 dst_sel:DWORD dst_unused:UNUSED_PAD src0_sel:WORD_1 src1_sel:DWORD
	v_fmac_f16_e32 v23, v32, v17
	v_mul_f16_sdwa v17, v29, v16 dst_sel:DWORD dst_unused:UNUSED_PAD src0_sel:WORD_1 src1_sel:DWORD
	;; [unrolled: 4-line block ×3, first 2 shown]
	v_fma_f16 v17, v29, v37, -v17
	v_add_f16_e32 v29, v28, v40
	v_fmac_f16_e32 v26, v30, v18
	v_add_f16_e32 v18, v5, v28
	v_fma_f16 v16, v30, v39, -v16
	v_add_f16_e32 v30, v19, v7
	v_fma_f16 v5, -0.5, v29, v5
	v_sub_f16_e32 v29, v19, v7
	v_add_f16_e32 v19, v11, v19
	v_sub_f16_e32 v28, v28, v40
	v_fmac_f16_e32 v11, -0.5, v30
	v_lshrrev_b32_e32 v21, 16, v6
	v_fmamk_f16 v30, v29, 0xbaee, v5
	v_fmac_f16_e32 v5, 0x3aee, v29
	v_add_f16_e32 v7, v19, v7
	v_add_f16_e32 v19, v35, v20
	v_fmamk_f16 v29, v28, 0x3aee, v11
	v_add_f16_e32 v31, v6, v35
	v_fmac_f16_e32 v11, 0xbaee, v28
	v_add_f16_e32 v28, v9, v8
	v_fmac_f16_e32 v6, -0.5, v19
	v_sub_f16_e32 v19, v9, v8
	v_add_f16_e32 v31, v31, v20
	v_add_f16_e32 v9, v21, v9
	v_fmac_f16_e32 v21, -0.5, v28
	v_sub_f16_e32 v20, v35, v20
	v_lshrrev_b32_e32 v24, 16, v13
	v_fmamk_f16 v28, v19, 0xbaee, v6
	v_fmac_f16_e32 v6, 0x3aee, v19
	v_add_f16_e32 v8, v9, v8
	v_add_f16_e32 v9, v22, v23
	v_fmamk_f16 v19, v20, 0x3aee, v21
	v_add_f16_e32 v32, v13, v22
	v_fmac_f16_e32 v21, 0xbaee, v20
	v_add_f16_e32 v20, v10, v15
	v_lshrrev_b32_e32 v27, 16, v14
	v_fma_f16 v9, -0.5, v9, v13
	v_sub_f16_e32 v13, v10, v15
	v_add_f16_e32 v32, v32, v23
	v_add_f16_e32 v10, v24, v10
	v_fmac_f16_e32 v24, -0.5, v20
	v_sub_f16_e32 v20, v22, v23
	v_add_f16_e32 v23, v25, v26
	v_fmamk_f16 v22, v13, 0xbaee, v9
	v_fmac_f16_e32 v9, 0x3aee, v13
	v_add_f16_e32 v10, v10, v15
	v_fmamk_f16 v13, v20, 0x3aee, v24
	v_add_f16_e32 v15, v14, v25
	v_fmac_f16_e32 v14, -0.5, v23
	v_sub_f16_e32 v23, v17, v16
	v_fmac_f16_e32 v24, 0xbaee, v20
	v_add_f16_e32 v20, v27, v17
	v_add_f16_e32 v17, v17, v16
	;; [unrolled: 1-line block ×4, first 2 shown]
	v_pack_b32_f16 v5, v5, v11
	v_add_f16_e32 v16, v20, v16
	v_fmac_f16_e32 v27, -0.5, v17
	v_sub_f16_e32 v17, v25, v26
	v_pack_b32_f16 v7, v18, v7
	v_pack_b32_f16 v18, v30, v29
	v_fmamk_f16 v33, v23, 0xbaee, v14
	v_pack_b32_f16 v8, v31, v8
	v_fmamk_f16 v11, v17, 0x3aee, v27
	v_fmac_f16_e32 v14, 0x3aee, v23
	v_fmac_f16_e32 v27, 0xbaee, v17
	v_pack_b32_f16 v6, v6, v21
	ds_write_b32 v54, v18 offset:1872
	ds_write_b32 v54, v5 offset:3744
	ds_write2_b32 v54, v7, v8 offset1:117
	v_pack_b32_f16 v5, v28, v19
	v_pack_b32_f16 v7, v32, v10
	;; [unrolled: 1-line block ×3, first 2 shown]
	v_add_nc_u32_e32 v10, 0x800, v54
	v_pack_b32_f16 v13, v15, v16
	v_pack_b32_f16 v11, v33, v11
	;; [unrolled: 1-line block ×4, first 2 shown]
	ds_write_b32 v54, v6 offset:4212
	ds_write2_b32 v10, v5, v8 offset0:73 offset1:190
	ds_write2_b32 v3, v7, v13 offset0:106 offset1:223
	ds_write_b32 v54, v11 offset:3276
	ds_write2_b32 v0, v9, v14 offset0:18 offset1:135
	s_waitcnt lgkmcnt(0)
	s_barrier
	buffer_gl0_inv
	ds_read2_b32 v[5:6], v54 offset1:117
	s_waitcnt lgkmcnt(0)
	v_lshrrev_b32_e32 v9, 16, v5
	v_mul_f16_sdwa v7, v53, v9 dst_sel:DWORD dst_unused:UNUSED_PAD src0_sel:WORD_1 src1_sel:DWORD
	v_fmac_f16_e32 v7, v53, v5
	v_mul_f16_sdwa v5, v53, v5 dst_sel:DWORD dst_unused:UNUSED_PAD src0_sel:WORD_1 src1_sel:DWORD
	v_cvt_f32_f16_e32 v7, v7
	v_fma_f16 v5, v53, v9, -v5
	v_cvt_f64_f32_e32 v[7:8], v7
	v_cvt_f32_f16_e32 v5, v5
	v_cvt_f64_f32_e32 v[9:10], v5
	ds_read2_b32 v[4:5], v4 offset0:62 offset1:179
	v_mul_f64 v[7:8], v[7:8], s[4:5]
	s_waitcnt lgkmcnt(0)
	v_lshrrev_b32_e32 v17, 16, v4
	v_mul_f64 v[9:10], v[9:10], s[4:5]
	v_mul_f16_sdwa v18, v52, v17 dst_sel:DWORD dst_unused:UNUSED_PAD src0_sel:WORD_1 src1_sel:DWORD
	v_fmac_f16_e32 v18, v52, v4
	v_mul_f16_sdwa v4, v52, v4 dst_sel:DWORD dst_unused:UNUSED_PAD src0_sel:WORD_1 src1_sel:DWORD
	v_fma_f16 v4, v52, v17, -v4
	v_and_or_b32 v7, 0x1ff, v8, v7
	v_lshrrev_b32_e32 v11, 8, v8
	v_bfe_u32 v13, v8, 20, 11
	v_cvt_f32_f16_e32 v4, v4
	v_cmp_ne_u32_e32 vcc_lo, 0, v7
	v_and_or_b32 v9, 0x1ff, v10, v9
	v_lshrrev_b32_e32 v16, 8, v10
	v_bfe_u32 v19, v10, 20, 11
	v_add_nc_u32_e32 v20, 0xfffffc10, v13
	v_cndmask_b32_e64 v7, 0, 1, vcc_lo
	v_cmp_ne_u32_e32 vcc_lo, 0, v9
	v_lshrrev_b32_e32 v10, 16, v10
	v_cmp_eq_u32_e64 s1, 0x40f, v20
	v_and_or_b32 v11, 0xffe, v11, v7
	v_sub_nc_u32_e32 v7, 0x3f1, v13
	v_cndmask_b32_e64 v9, 0, 1, vcc_lo
	v_cvt_f32_f16_e32 v13, v18
	v_or_b32_e32 v14, 0x1000, v11
	v_med3_i32 v7, v7, 0, 13
	v_and_or_b32 v9, 0xffe, v16, v9
	v_sub_nc_u32_e32 v16, 0x3f1, v19
	v_lshl_or_b32 v22, v20, 12, v11
	v_lshrrev_b32_e32 v15, v7, v14
	v_or_b32_e32 v18, 0x1000, v9
	v_med3_i32 v21, v16, 0, 13
	v_lshlrev_b32_e32 v7, v7, v15
	v_lshrrev_b32_e32 v23, v21, v18
	v_cmp_ne_u32_e32 vcc_lo, v7, v14
	v_cvt_f64_f32_e32 v[13:14], v13
	v_lshlrev_b32_e32 v21, v21, v23
	v_cndmask_b32_e64 v7, 0, 1, vcc_lo
	v_cmp_gt_i32_e32 vcc_lo, 1, v20
	v_or_b32_e32 v7, v15, v7
	v_mad_u64_u32 v[15:16], null, s10, v12, 0
	v_cndmask_b32_e32 v22, v22, v7, vcc_lo
	v_cmp_ne_u32_e32 vcc_lo, v21, v18
	v_add_nc_u32_e32 v18, 0xfffffc10, v19
	v_mov_b32_e32 v7, v16
	v_and_b32_e32 v24, 7, v22
	v_cndmask_b32_e64 v16, 0, 1, vcc_lo
	v_lshrrev_b32_e32 v19, 2, v22
	v_lshl_or_b32 v21, v18, 12, v9
	v_mul_f64 v[13:14], v[13:14], s[4:5]
	v_cmp_lt_i32_e32 vcc_lo, 5, v24
	v_cmp_eq_u32_e64 s0, 3, v24
	v_or_b32_e32 v16, v23, v16
	s_or_b32 vcc_lo, s0, vcc_lo
	v_add_co_ci_u32_e32 v19, vcc_lo, 0, v19, vcc_lo
	v_cmp_gt_i32_e32 vcc_lo, 1, v18
	v_cndmask_b32_e32 v21, v21, v16, vcc_lo
	v_cmp_ne_u32_e32 vcc_lo, 0, v11
	v_cvt_f64_f32_e32 v[16:17], v4
	v_and_b32_e32 v22, 7, v21
	v_cndmask_b32_e64 v11, 0, 1, vcc_lo
	v_cmp_gt_i32_e32 vcc_lo, 31, v20
	v_bfe_u32 v20, v14, 20, 11
	v_cmp_eq_u32_e64 s0, 3, v22
	v_lshl_or_b32 v23, v11, 9, 0x7c00
	v_cndmask_b32_e32 v19, 0x7c00, v19, vcc_lo
	v_cmp_lt_i32_e32 vcc_lo, 5, v22
	v_mad_u64_u32 v[11:12], null, s11, v12, v[7:8]
	v_lshrrev_b32_e32 v7, 2, v21
	v_cndmask_b32_e64 v4, v19, v23, s1
	s_or_b32 vcc_lo, s0, vcc_lo
	v_lshrrev_b32_e32 v19, 16, v8
	v_and_or_b32 v8, 0x1ff, v14, v13
	v_add_co_ci_u32_e32 v7, vcc_lo, 0, v7, vcc_lo
	v_cmp_ne_u32_e32 vcc_lo, 0, v9
	v_lshrrev_b32_e32 v12, 8, v14
	v_lshrrev_b32_e32 v23, 16, v6
	;; [unrolled: 1-line block ×3, first 2 shown]
	v_cndmask_b32_e64 v9, 0, 1, vcc_lo
	v_cmp_ne_u32_e32 vcc_lo, 0, v8
	v_lshl_or_b32 v9, v9, 9, 0x7c00
	v_cndmask_b32_e64 v8, 0, 1, vcc_lo
	v_cmp_gt_i32_e32 vcc_lo, 31, v18
	v_and_or_b32 v21, 0xffe, v12, v8
	v_cndmask_b32_e32 v13, 0x7c00, v7, vcc_lo
	v_mul_f64 v[7:8], v[16:17], s[4:5]
	v_cmp_eq_u32_e32 vcc_lo, 0x40f, v18
	v_sub_nc_u32_e32 v16, 0x3f1, v20
	v_or_b32_e32 v17, 0x1000, v21
	v_cndmask_b32_e32 v9, v13, v9, vcc_lo
	v_mad_u64_u32 v[12:13], null, s8, v50, 0
	v_med3_i32 v18, v16, 0, 13
	v_mov_b32_e32 v16, v11
	v_and_or_b32 v11, 0x8000, v19, v4
	v_and_or_b32 v22, 0x8000, v10, v9
	v_lshrrev_b32_e32 v19, v18, v17
	v_mov_b32_e32 v4, v13
	v_lshlrev_b64 v[15:16], 2, v[15:16]
	v_lshlrev_b32_e32 v13, v18, v19
	v_mad_u64_u32 v[9:10], null, s9, v50, v[4:5]
	v_mul_f16_sdwa v10, v51, v23 dst_sel:DWORD dst_unused:UNUSED_PAD src0_sel:WORD_1 src1_sel:DWORD
	v_and_or_b32 v7, 0x1ff, v8, v7
	v_cmp_ne_u32_e32 vcc_lo, v13, v17
	v_and_b32_e32 v4, 0xffff, v11
	v_add_nc_u32_e32 v17, 0xfffffc10, v20
	v_fmac_f16_e32 v10, v51, v6
	v_lshrrev_b32_e32 v13, 8, v8
	v_cndmask_b32_e64 v11, 0, 1, vcc_lo
	v_cmp_ne_u32_e32 vcc_lo, 0, v7
	v_bfe_u32 v18, v8, 20, 11
	v_cvt_f32_f16_e32 v10, v10
	v_lshl_or_b32 v20, v17, 12, v21
	v_or_b32_e32 v19, v19, v11
	v_cndmask_b32_e64 v7, 0, 1, vcc_lo
	v_cmp_gt_i32_e32 vcc_lo, 1, v17
	v_cvt_f64_f32_e32 v[10:11], v10
	v_lshl_or_b32 v4, v22, 16, v4
	v_mul_f16_sdwa v6, v51, v6 dst_sel:DWORD dst_unused:UNUSED_PAD src0_sel:WORD_1 src1_sel:DWORD
	v_and_or_b32 v24, 0xffe, v13, v7
	v_sub_nc_u32_e32 v7, 0x3f1, v18
	v_cndmask_b32_e32 v19, v20, v19, vcc_lo
	v_mov_b32_e32 v13, v9
	v_fma_f16 v23, v51, v23, -v6
	v_or_b32_e32 v20, 0x1000, v24
	v_med3_i32 v7, v7, 0, 13
	v_and_b32_e32 v9, 7, v19
	v_add_co_u32 v15, vcc_lo, s2, v15
	v_add_co_ci_u32_e32 v16, vcc_lo, s3, v16, vcc_lo
	v_lshrrev_b32_e32 v22, v7, v20
	v_cmp_lt_i32_e32 vcc_lo, 5, v9
	v_cmp_eq_u32_e64 s0, 3, v9
	v_add_nc_u32_e32 v18, 0xfffffc10, v18
	s_mul_hi_u32 s2, s8, 0xaf8
	v_lshlrev_b32_e32 v25, v7, v22
	v_lshlrev_b64 v[6:7], 2, v[12:13]
	v_mul_f64 v[9:10], v[10:11], s[4:5]
	v_cvt_f32_f16_e32 v12, v23
	s_or_b32 vcc_lo, s0, vcc_lo
	v_cmp_ne_u32_e64 s1, v25, v20
	s_mul_i32 s3, s8, 0xaf8
	v_cvt_f64_f32_e32 v[11:12], v12
	v_cndmask_b32_e64 v13, 0, 1, s1
	v_add_co_u32 v6, s1, v15, v6
	v_lshrrev_b32_e32 v15, 2, v19
	v_add_co_ci_u32_e64 v7, s1, v16, v7, s1
	v_or_b32_e32 v13, v22, v13
	v_lshl_or_b32 v16, v18, 12, v24
	v_add_co_ci_u32_e32 v15, vcc_lo, 0, v15, vcc_lo
	v_cmp_ne_u32_e32 vcc_lo, 0, v21
	global_store_dword v[6:7], v4, off
	v_and_or_b32 v9, 0x1ff, v10, v9
	v_cndmask_b32_e64 v19, 0, 1, vcc_lo
	v_cmp_gt_i32_e32 vcc_lo, 1, v18
	v_cmp_ne_u32_e64 s0, 0, v9
	v_mul_f64 v[11:12], v[11:12], s[4:5]
	v_cndmask_b32_e32 v13, v16, v13, vcc_lo
	v_cmp_gt_i32_e32 vcc_lo, 31, v17
	v_lshl_or_b32 v16, v19, 9, 0x7c00
	v_cndmask_b32_e64 v9, 0, 1, s0
	v_lshrrev_b32_e32 v19, 16, v5
	v_and_b32_e32 v4, 7, v13
	v_cndmask_b32_e32 v15, 0x7c00, v15, vcc_lo
	v_cmp_eq_u32_e32 vcc_lo, 0x40f, v17
	v_lshrrev_b32_e32 v13, 2, v13
	v_bfe_u32 v17, v10, 20, 11
	v_cmp_eq_u32_e64 s0, 3, v4
	v_mul_f16_sdwa v21, v49, v19 dst_sel:DWORD dst_unused:UNUSED_PAD src0_sel:WORD_1 src1_sel:DWORD
	v_cndmask_b32_e32 v15, v15, v16, vcc_lo
	v_cmp_lt_i32_e32 vcc_lo, 5, v4
	v_lshrrev_b32_e32 v16, 8, v10
	v_fmac_f16_e32 v21, v49, v5
	v_and_or_b32 v4, 0x8000, v14, v15
	s_or_b32 vcc_lo, s0, vcc_lo
	v_and_or_b32 v14, 0xffe, v16, v9
	v_add_co_ci_u32_e32 v13, vcc_lo, 0, v13, vcc_lo
	v_sub_nc_u32_e32 v9, 0x3f1, v17
	v_cmp_ne_u32_e32 vcc_lo, 0, v24
	v_or_b32_e32 v16, 0x1000, v14
	v_and_or_b32 v11, 0x1ff, v12, v11
	v_add_nc_u32_e32 v17, 0xfffffc10, v17
	v_med3_i32 v9, v9, 0, 13
	v_cndmask_b32_e64 v15, 0, 1, vcc_lo
	v_cmp_gt_i32_e32 vcc_lo, 31, v18
	v_and_b32_e32 v4, 0xffff, v4
	s_mul_i32 s0, s9, 0xaf8
	v_lshrrev_b32_e32 v20, v9, v16
	v_lshl_or_b32 v15, v15, 9, 0x7c00
	v_cndmask_b32_e32 v13, 0x7c00, v13, vcc_lo
	v_cmp_eq_u32_e32 vcc_lo, 0x40f, v18
	v_lshrrev_b32_e32 v18, 8, v12
	s_add_i32 s2, s2, s0
	v_mul_f16_sdwa v5, v49, v5 dst_sel:DWORD dst_unused:UNUSED_PAD src0_sel:WORD_1 src1_sel:DWORD
	v_cndmask_b32_e32 v13, v13, v15, vcc_lo
	v_lshrrev_b32_e32 v15, 16, v8
	v_lshlrev_b32_e32 v8, v9, v20
	v_cmp_ne_u32_e32 vcc_lo, 0, v11
	v_cvt_f32_f16_e32 v9, v21
	v_bfe_u32 v21, v12, 20, 11
	v_and_or_b32 v13, 0x8000, v15, v13
	v_fma_f16 v5, v49, v19, -v5
	v_cndmask_b32_e64 v11, 0, 1, vcc_lo
	v_cmp_ne_u32_e32 vcc_lo, v8, v16
	v_cvt_f64_f32_e32 v[8:9], v9
	v_lshl_or_b32 v23, v13, 16, v4
	v_cvt_f32_f16_e32 v5, v5
	v_and_or_b32 v11, 0xffe, v18, v11
	v_cndmask_b32_e64 v16, 0, 1, vcc_lo
	v_sub_nc_u32_e32 v18, 0x3f1, v21
	v_cmp_gt_i32_e32 vcc_lo, 1, v17
	v_lshrrev_b32_e32 v12, 16, v12
	v_or_b32_e32 v15, 0x1000, v11
	v_or_b32_e32 v16, v20, v16
	v_lshl_or_b32 v20, v17, 12, v14
	v_med3_i32 v18, v18, 0, 13
	v_cndmask_b32_e32 v16, v20, v16, vcc_lo
	v_lshrrev_b32_e32 v20, v18, v15
	v_and_b32_e32 v22, 7, v16
	v_lshlrev_b32_e32 v4, v18, v20
	v_lshrrev_b32_e32 v13, 2, v16
	v_mul_f64 v[8:9], v[8:9], s[4:5]
	v_cmp_lt_i32_e32 vcc_lo, 5, v22
	v_cmp_eq_u32_e64 s0, 3, v22
	v_cmp_ne_u32_e64 s1, v4, v15
	v_add_nc_u32_e32 v15, 0xfffffc10, v21
	v_lshrrev_b32_e32 v22, 16, v10
	s_or_b32 vcc_lo, s0, vcc_lo
	v_cndmask_b32_e64 v4, 0, 1, s1
	v_add_co_ci_u32_e32 v13, vcc_lo, 0, v13, vcc_lo
	v_cmp_ne_u32_e32 vcc_lo, 0, v14
	v_lshl_or_b32 v18, v15, 12, v11
	v_or_b32_e32 v16, v20, v4
	ds_read2_b32 v[3:4], v3 offset0:106 offset1:223
	v_cndmask_b32_e64 v14, 0, 1, vcc_lo
	v_cmp_gt_i32_e32 vcc_lo, 1, v15
	v_lshl_or_b32 v19, v14, 9, 0x7c00
	v_cndmask_b32_e32 v16, v18, v16, vcc_lo
	v_cmp_gt_i32_e32 vcc_lo, 31, v17
	v_and_b32_e32 v20, 7, v16
	v_cndmask_b32_e32 v18, 0x7c00, v13, vcc_lo
	v_cvt_f64_f32_e32 v[13:14], v5
	v_and_or_b32 v5, 0x1ff, v9, v8
	v_cmp_eq_u32_e32 vcc_lo, 0x40f, v17
	v_cmp_eq_u32_e64 s0, 3, v20
	v_lshrrev_b32_e32 v16, 2, v16
	v_lshrrev_b32_e32 v17, 8, v9
	v_cmp_ne_u32_e64 s1, 0, v5
	v_cndmask_b32_e32 v8, v18, v19, vcc_lo
	v_cmp_lt_i32_e32 vcc_lo, 5, v20
	v_bfe_u32 v18, v9, 20, 11
	s_waitcnt lgkmcnt(0)
	v_lshrrev_b32_e32 v19, 16, v3
	v_cndmask_b32_e64 v5, 0, 1, s1
	s_mul_hi_u32 s1, s8, 0xfffff6dc
	s_or_b32 vcc_lo, s0, vcc_lo
	s_mul_i32 s0, s9, 0xfffff6dc
	v_add_co_ci_u32_e32 v16, vcc_lo, 0, v16, vcc_lo
	v_and_or_b32 v17, 0xffe, v17, v5
	v_sub_nc_u32_e32 v5, 0x3f1, v18
	v_cmp_ne_u32_e32 vcc_lo, 0, v11
	v_mul_f16_sdwa v20, v48, v19 dst_sel:DWORD dst_unused:UNUSED_PAD src0_sel:WORD_1 src1_sel:DWORD
	s_sub_i32 s6, s1, s8
	v_mul_f64 v[13:14], v[13:14], s[4:5]
	v_or_b32_e32 v21, 0x1000, v17
	v_cndmask_b32_e64 v11, 0, 1, vcc_lo
	v_med3_i32 v5, v5, 0, 13
	v_cmp_gt_i32_e32 vcc_lo, 31, v15
	v_fmac_f16_e32 v20, v48, v3
	v_mul_f16_sdwa v3, v48, v3 dst_sel:DWORD dst_unused:UNUSED_PAD src0_sel:WORD_1 src1_sel:DWORD
	v_lshl_or_b32 v11, v11, 9, 0x7c00
	v_lshrrev_b32_e32 v24, v5, v21
	v_cndmask_b32_e32 v16, 0x7c00, v16, vcc_lo
	v_cmp_eq_u32_e32 vcc_lo, 0x40f, v15
	v_cvt_f32_f16_e32 v10, v20
	v_fma_f16 v3, v48, v19, -v3
	s_add_i32 s6, s6, s0
	v_lshrrev_b32_e32 v9, 16, v9
	v_cndmask_b32_e32 v15, v16, v11, vcc_lo
	v_lshlrev_b32_e32 v16, v5, v24
	v_cvt_f64_f32_e32 v[10:11], v10
	v_add_co_u32 v5, vcc_lo, v6, s3
	v_add_co_ci_u32_e32 v6, vcc_lo, s2, v7, vcc_lo
	v_cmp_ne_u32_e32 vcc_lo, v16, v21
	v_and_or_b32 v13, 0x1ff, v14, v13
	v_and_or_b32 v7, 0x8000, v22, v8
	;; [unrolled: 1-line block ×3, first 2 shown]
	v_add_nc_u32_e32 v15, 0xfffffc10, v18
	v_cndmask_b32_e64 v8, 0, 1, vcc_lo
	v_cmp_ne_u32_e32 vcc_lo, 0, v13
	v_lshrrev_b32_e32 v18, 8, v14
	v_bfe_u32 v20, v14, 20, 11
	v_and_b32_e32 v16, 0xffff, v7
	v_or_b32_e32 v7, v24, v8
	v_cndmask_b32_e64 v13, 0, 1, vcc_lo
	v_lshl_or_b32 v8, v15, 12, v17
	v_cmp_gt_i32_e32 vcc_lo, 1, v15
	v_lshl_or_b32 v16, v12, 16, v16
	v_cvt_f32_f16_e32 v3, v3
	v_and_or_b32 v18, 0xffe, v18, v13
	v_sub_nc_u32_e32 v13, 0x3f1, v20
	v_cndmask_b32_e32 v21, v8, v7, vcc_lo
	v_mul_f64 v[7:8], v[10:11], s[4:5]
	v_add_nc_u32_e32 v20, 0xfffffc10, v20
	v_or_b32_e32 v22, 0x1000, v18
	v_med3_i32 v11, v13, 0, 13
	v_and_b32_e32 v10, 7, v21
	v_lshrrev_b32_e32 v14, 16, v14
	global_store_dword v[5:6], v23, off
	v_mul_f16_sdwa v23, v46, v4 dst_sel:DWORD dst_unused:UNUSED_PAD src0_sel:WORD_1 src1_sel:DWORD
	v_lshrrev_b32_e32 v12, v11, v22
	v_cmp_lt_i32_e32 vcc_lo, 5, v10
	v_cmp_eq_u32_e64 s0, 3, v10
	v_lshrrev_b32_e32 v10, 2, v21
	v_lshlrev_b32_e32 v13, v11, v12
	s_or_b32 vcc_lo, s0, vcc_lo
	v_add_co_ci_u32_e32 v19, vcc_lo, 0, v10, vcc_lo
	v_cmp_ne_u32_e32 vcc_lo, v13, v22
	v_cvt_f64_f32_e32 v[10:11], v3
	v_and_or_b32 v7, 0x1ff, v8, v7
	v_bfe_u32 v22, v8, 20, 11
	v_cndmask_b32_e64 v3, 0, 1, vcc_lo
	v_cmp_ne_u32_e32 vcc_lo, 0, v17
	v_lshrrev_b32_e32 v17, 8, v8
	v_lshrrev_b32_e32 v8, 16, v8
	v_or_b32_e32 v3, v12, v3
	v_cndmask_b32_e64 v13, 0, 1, vcc_lo
	v_cmp_ne_u32_e32 vcc_lo, 0, v7
	v_lshl_or_b32 v12, v20, 12, v18
	v_lshl_or_b32 v13, v13, 9, 0x7c00
	v_cndmask_b32_e64 v7, 0, 1, vcc_lo
	v_cmp_gt_i32_e32 vcc_lo, 1, v20
	v_and_or_b32 v7, 0xffe, v17, v7
	v_cndmask_b32_e32 v21, v12, v3, vcc_lo
	v_cmp_gt_i32_e32 vcc_lo, 31, v15
	v_sub_nc_u32_e32 v17, 0x3f1, v22
	v_mul_f64 v[10:11], v[10:11], s[4:5]
	v_or_b32_e32 v24, 0x1000, v7
	ds_read2_b32 v[2:3], v2 offset0:40 offset1:157
	v_cndmask_b32_e32 v12, 0x7c00, v19, vcc_lo
	v_and_b32_e32 v19, 7, v21
	v_med3_i32 v17, v17, 0, 13
	v_cmp_eq_u32_e32 vcc_lo, 0x40f, v15
	v_lshrrev_b32_e32 v21, 2, v21
	v_cmp_eq_u32_e64 s0, 3, v19
	v_cndmask_b32_e32 v15, v12, v13, vcc_lo
	v_cmp_lt_i32_e32 vcc_lo, 5, v19
	v_lshrrev_b32_e32 v19, v17, v24
	v_add_co_u32 v12, s1, v5, s7
	v_and_or_b32 v25, 0x8000, v9, v15
	s_or_b32 vcc_lo, s0, vcc_lo
	v_lshlrev_b32_e32 v9, v17, v19
	v_add_co_ci_u32_e32 v15, vcc_lo, 0, v21, vcc_lo
	v_add_nc_u32_e32 v21, 0xfffffc10, v22
	v_and_or_b32 v10, 0x1ff, v11, v10
	v_cmp_ne_u32_e32 vcc_lo, v9, v24
	s_waitcnt lgkmcnt(0)
	v_lshrrev_b32_e32 v17, 16, v2
	v_lshrrev_b32_e32 v24, 8, v11
	v_bfe_u32 v26, v11, 20, 11
	v_add_co_ci_u32_e64 v13, s1, s6, v6, s1
	v_cndmask_b32_e64 v9, 0, 1, vcc_lo
	v_cmp_ne_u32_e32 vcc_lo, 0, v18
	v_mul_f16_sdwa v22, v47, v17 dst_sel:DWORD dst_unused:UNUSED_PAD src0_sel:WORD_1 src1_sel:DWORD
	v_sub_nc_u32_e32 v27, 0x3f1, v26
	global_store_dword v[12:13], v16, off
	v_or_b32_e32 v9, v19, v9
	v_cndmask_b32_e64 v18, 0, 1, vcc_lo
	v_cmp_ne_u32_e32 vcc_lo, 0, v10
	v_lshl_or_b32 v19, v21, 12, v7
	v_fmac_f16_e32 v22, v47, v2
	v_med3_i32 v27, v27, 0, 13
	v_lshl_or_b32 v18, v18, 9, 0x7c00
	v_cndmask_b32_e64 v10, 0, 1, vcc_lo
	v_cmp_gt_i32_e32 vcc_lo, 1, v21
	v_cvt_f32_f16_e32 v22, v22
	v_mul_f16_sdwa v2, v47, v2 dst_sel:DWORD dst_unused:UNUSED_PAD src0_sel:WORD_1 src1_sel:DWORD
	v_lshrrev_b32_e32 v11, 16, v11
	v_and_or_b32 v24, 0xffe, v24, v10
	v_cndmask_b32_e32 v19, v19, v9, vcc_lo
	v_cmp_gt_i32_e32 vcc_lo, 31, v20
	v_cvt_f64_f32_e32 v[9:10], v22
	v_fma_f16 v2, v47, v17, -v2
	v_or_b32_e32 v28, 0x1000, v24
	v_and_b32_e32 v22, 7, v19
	v_cndmask_b32_e32 v15, 0x7c00, v15, vcc_lo
	v_cmp_eq_u32_e32 vcc_lo, 0x40f, v20
	v_cvt_f32_f16_e32 v2, v2
	v_cmp_eq_u32_e64 s0, 3, v22
	v_cndmask_b32_e32 v15, v15, v18, vcc_lo
	v_lshrrev_b32_e32 v18, v27, v28
	v_cmp_lt_i32_e32 vcc_lo, 5, v22
	v_add_nc_u32_e32 v22, 0xfffffc10, v26
	v_and_or_b32 v20, 0x8000, v14, v15
	v_lshrrev_b32_e32 v14, 2, v19
	v_lshlrev_b32_e32 v15, v27, v18
	s_or_b32 vcc_lo, s0, vcc_lo
	v_add_co_ci_u32_e32 v17, vcc_lo, 0, v14, vcc_lo
	v_cmp_ne_u32_e32 vcc_lo, v15, v28
	v_mul_f64 v[9:10], v[9:10], s[4:5]
	v_cvt_f64_f32_e32 v[14:15], v2
	v_cndmask_b32_e64 v19, 0, 1, vcc_lo
	v_cmp_ne_u32_e32 vcc_lo, 0, v7
	v_or_b32_e32 v7, v18, v19
	v_cndmask_b32_e64 v2, 0, 1, vcc_lo
	v_cmp_gt_i32_e32 vcc_lo, 31, v21
	v_lshl_or_b32 v18, v22, 12, v24
	v_and_b32_e32 v19, 0xffff, v25
	v_lshl_or_b32 v2, v2, 9, 0x7c00
	v_cndmask_b32_e32 v17, 0x7c00, v17, vcc_lo
	v_cmp_gt_i32_e32 vcc_lo, 1, v22
	v_lshl_or_b32 v16, v20, 16, v19
	v_cndmask_b32_e32 v7, v18, v7, vcc_lo
	v_cmp_eq_u32_e32 vcc_lo, 0x40f, v21
	v_and_b32_e32 v5, 7, v7
	v_cndmask_b32_e32 v2, v17, v2, vcc_lo
	v_lshrrev_b32_e32 v7, 2, v7
	v_cmp_lt_i32_e32 vcc_lo, 5, v5
	v_and_or_b32 v2, 0x8000, v8, v2
	v_and_or_b32 v8, 0x1ff, v10, v9
	v_cmp_eq_u32_e64 s0, 3, v5
	v_mul_f64 v[5:6], v[14:15], s[4:5]
	v_lshrrev_b32_e32 v9, 8, v10
	v_bfe_u32 v14, v10, 20, 11
	v_cmp_ne_u32_e64 s1, 0, v8
	s_or_b32 vcc_lo, s0, vcc_lo
	v_lshrrev_b32_e32 v15, 16, v4
	v_add_co_ci_u32_e32 v7, vcc_lo, 0, v7, vcc_lo
	v_cndmask_b32_e64 v8, 0, 1, s1
	v_cmp_ne_u32_e32 vcc_lo, 0, v24
	v_mul_f16_sdwa v19, v46, v15 dst_sel:DWORD dst_unused:UNUSED_PAD src0_sel:WORD_1 src1_sel:DWORD
	v_and_b32_e32 v2, 0xffff, v2
	v_fma_f16 v15, v46, v15, -v23
	v_and_or_b32 v9, 0xffe, v9, v8
	v_sub_nc_u32_e32 v8, 0x3f1, v14
	v_cndmask_b32_e64 v17, 0, 1, vcc_lo
	v_cmp_gt_i32_e32 vcc_lo, 31, v22
	v_fmac_f16_e32 v19, v46, v4
	v_or_b32_e32 v18, 0x1000, v9
	v_med3_i32 v8, v8, 0, 13
	v_lshl_or_b32 v17, v17, 9, 0x7c00
	v_cndmask_b32_e32 v7, 0x7c00, v7, vcc_lo
	v_and_or_b32 v5, 0x1ff, v6, v5
	v_cmp_eq_u32_e32 vcc_lo, 0x40f, v22
	v_lshrrev_b32_e32 v20, v8, v18
	v_bfe_u32 v22, v6, 20, 11
	v_cvt_f32_f16_e32 v15, v15
	v_cndmask_b32_e32 v17, v7, v17, vcc_lo
	v_lshlrev_b32_e32 v21, v8, v20
	v_cmp_ne_u32_e32 vcc_lo, 0, v5
	v_cvt_f32_f16_e32 v7, v19
	v_lshrrev_b32_e32 v19, 8, v6
	v_and_or_b32 v17, 0x8000, v11, v17
	v_cndmask_b32_e64 v5, 0, 1, vcc_lo
	v_cmp_ne_u32_e32 vcc_lo, v21, v18
	v_cvt_f64_f32_e32 v[7:8], v7
	v_add_nc_u32_e32 v21, 0xfffffc10, v14
	v_lshl_or_b32 v2, v17, 16, v2
	v_and_or_b32 v19, 0xffe, v19, v5
	v_cndmask_b32_e64 v18, 0, 1, vcc_lo
	v_sub_nc_u32_e32 v5, 0x3f1, v22
	v_cmp_gt_i32_e32 vcc_lo, 1, v21
	v_or_b32_e32 v14, v20, v18
	v_lshl_or_b32 v18, v21, 12, v9
	v_or_b32_e32 v20, 0x1000, v19
	v_med3_i32 v5, v5, 0, 13
	v_cndmask_b32_e32 v14, v18, v14, vcc_lo
	v_add_co_u32 v11, vcc_lo, v12, s3
	v_lshrrev_b32_e32 v18, v5, v20
	v_add_co_ci_u32_e32 v12, vcc_lo, s2, v13, vcc_lo
	v_and_b32_e32 v13, 7, v14
	v_mul_f64 v[7:8], v[7:8], s[4:5]
	v_lshlrev_b32_e32 v17, v5, v18
	v_add_co_u32 v4, vcc_lo, v11, s7
	v_add_co_ci_u32_e32 v5, vcc_lo, s6, v12, vcc_lo
	v_cmp_ne_u32_e64 s0, v17, v20
	v_cmp_lt_i32_e32 vcc_lo, 5, v13
	v_add_nc_u32_e32 v20, 0xfffffc10, v22
	v_lshrrev_b32_e32 v22, 2, v14
	global_store_dword v[11:12], v16, off
	global_store_dword v[4:5], v2, off
	v_cndmask_b32_e64 v17, 0, 1, s0
	v_cmp_eq_u32_e64 s0, 3, v13
	v_cvt_f64_f32_e32 v[13:14], v15
	v_or_b32_e32 v17, v18, v17
	s_or_b32 vcc_lo, s0, vcc_lo
	v_lshl_or_b32 v18, v20, 12, v19
	v_add_co_ci_u32_e32 v15, vcc_lo, 0, v22, vcc_lo
	v_cmp_ne_u32_e32 vcc_lo, 0, v9
	v_and_or_b32 v7, 0x1ff, v8, v7
	v_lshrrev_b32_e32 v22, 8, v8
	v_bfe_u32 v23, v8, 20, 11
	v_lshrrev_b32_e32 v8, 16, v8
	v_cndmask_b32_e64 v9, 0, 1, vcc_lo
	v_cmp_gt_i32_e32 vcc_lo, 1, v20
	v_lshl_or_b32 v9, v9, 9, 0x7c00
	v_cndmask_b32_e32 v17, v18, v17, vcc_lo
	v_cmp_gt_i32_e32 vcc_lo, 31, v21
	v_and_b32_e32 v18, 7, v17
	v_cndmask_b32_e32 v15, 0x7c00, v15, vcc_lo
	v_cmp_ne_u32_e32 vcc_lo, 0, v7
	v_cmp_eq_u32_e64 s0, 3, v18
	v_cndmask_b32_e64 v7, 0, 1, vcc_lo
	v_cmp_eq_u32_e32 vcc_lo, 0x40f, v21
	v_lshrrev_b32_e32 v21, 16, v10
	v_and_or_b32 v22, 0xffe, v22, v7
	v_cndmask_b32_e32 v15, v15, v9, vcc_lo
	v_cmp_lt_i32_e32 vcc_lo, 5, v18
	v_mul_f64 v[9:10], v[13:14], s[4:5]
	v_lshrrev_b32_e32 v14, 2, v17
	v_sub_nc_u32_e32 v7, 0x3f1, v23
	v_or_b32_e32 v17, 0x1000, v22
	s_or_b32 vcc_lo, s0, vcc_lo
	v_lshrrev_b32_e32 v13, 16, v3
	v_add_co_ci_u32_e32 v14, vcc_lo, 0, v14, vcc_lo
	v_med3_i32 v7, v7, 0, 13
	v_cmp_ne_u32_e32 vcc_lo, 0, v19
	v_mul_f16_sdwa v18, v45, v13 dst_sel:DWORD dst_unused:UNUSED_PAD src0_sel:WORD_1 src1_sel:DWORD
	v_and_or_b32 v15, 0x8000, v21, v15
	v_lshrrev_b32_e32 v24, v7, v17
	v_cndmask_b32_e64 v19, 0, 1, vcc_lo
	v_cmp_gt_i32_e32 vcc_lo, 31, v20
	v_fmac_f16_e32 v18, v45, v3
	v_mul_f16_sdwa v3, v45, v3 dst_sel:DWORD dst_unused:UNUSED_PAD src0_sel:WORD_1 src1_sel:DWORD
	v_lshlrev_b32_e32 v21, v7, v24
	v_lshl_or_b32 v19, v19, 9, 0x7c00
	v_cndmask_b32_e32 v14, 0x7c00, v14, vcc_lo
	v_cmp_eq_u32_e32 vcc_lo, 0x40f, v20
	v_and_or_b32 v9, 0x1ff, v10, v9
	v_cvt_f32_f16_e32 v7, v18
	v_lshrrev_b32_e32 v18, 16, v6
	v_lshrrev_b32_e32 v20, 8, v10
	v_cndmask_b32_e32 v14, v14, v19, vcc_lo
	v_cmp_ne_u32_e32 vcc_lo, v21, v17
	v_cvt_f64_f32_e32 v[6:7], v7
	v_add_nc_u32_e32 v19, 0xfffffc10, v23
	v_bfe_u32 v21, v10, 20, 11
	v_and_or_b32 v14, 0x8000, v18, v14
	v_cndmask_b32_e64 v17, 0, 1, vcc_lo
	v_cmp_ne_u32_e32 vcc_lo, 0, v9
	v_lshl_or_b32 v18, v19, 12, v22
	v_and_b32_e32 v15, 0xffff, v15
	v_fma_f16 v3, v45, v13, -v3
	v_or_b32_e32 v17, v24, v17
	v_cndmask_b32_e64 v9, 0, 1, vcc_lo
	v_cmp_gt_i32_e32 vcc_lo, 1, v19
	v_lshl_or_b32 v14, v14, 16, v15
	v_add_nc_u32_e32 v13, 0xfffffc10, v21
	v_and_or_b32 v9, 0xffe, v20, v9
	v_sub_nc_u32_e32 v20, 0x3f1, v21
	v_cndmask_b32_e32 v17, v18, v17, vcc_lo
	v_add_co_u32 v4, vcc_lo, v4, s3
	v_or_b32_e32 v18, 0x1000, v9
	v_med3_i32 v20, v20, 0, 13
	v_and_b32_e32 v2, 7, v17
	v_mul_f64 v[6:7], v[6:7], s[4:5]
	v_add_co_ci_u32_e32 v5, vcc_lo, s2, v5, vcc_lo
	v_lshrrev_b32_e32 v11, v20, v18
	v_cmp_lt_i32_e32 vcc_lo, 5, v2
	v_cmp_eq_u32_e64 s0, 3, v2
	v_lshrrev_b32_e32 v2, 2, v17
	global_store_dword v[4:5], v14, off
	v_lshlrev_b32_e32 v12, v20, v11
	s_or_b32 vcc_lo, s0, vcc_lo
	v_add_co_ci_u32_e32 v15, vcc_lo, 0, v2, vcc_lo
	v_cmp_ne_u32_e64 s1, v12, v18
	v_cmp_ne_u32_e32 vcc_lo, 0, v22
	v_cvt_f32_f16_e32 v2, v3
	v_cndmask_b32_e64 v12, 0, 1, s1
	v_cndmask_b32_e64 v16, 0, 1, vcc_lo
	v_cmp_gt_i32_e32 vcc_lo, 1, v13
	v_cvt_f64_f32_e32 v[2:3], v2
	v_and_or_b32 v6, 0x1ff, v7, v6
	v_or_b32_e32 v11, v11, v12
	v_lshl_or_b32 v12, v13, 12, v9
	v_bfe_u32 v20, v7, 20, 11
	v_lshrrev_b32_e32 v18, 8, v7
	v_cndmask_b32_e32 v17, v12, v11, vcc_lo
	v_cmp_gt_i32_e32 vcc_lo, 31, v19
	ds_read2_b32 v[11:12], v1 offset0:84 offset1:201
	v_cndmask_b32_e32 v1, 0x7c00, v15, vcc_lo
	v_cmp_ne_u32_e32 vcc_lo, 0, v6
	v_lshl_or_b32 v15, v16, 9, 0x7c00
	v_and_b32_e32 v16, 7, v17
	v_cndmask_b32_e64 v6, 0, 1, vcc_lo
	v_cmp_eq_u32_e32 vcc_lo, 0x40f, v19
	v_cmp_eq_u32_e64 s0, 3, v16
	v_and_or_b32 v18, 0xffe, v18, v6
	v_cndmask_b32_e32 v15, v1, v15, vcc_lo
	v_sub_nc_u32_e32 v1, 0x3f1, v20
	v_cmp_lt_i32_e32 vcc_lo, 5, v16
	v_lshrrev_b32_e32 v6, 2, v17
	v_or_b32_e32 v16, 0x1000, v18
	s_waitcnt lgkmcnt(0)
	v_lshrrev_b32_e32 v19, 16, v11
	v_med3_i32 v17, v1, 0, 13
	v_mul_f64 v[1:2], v[2:3], s[4:5]
	s_or_b32 vcc_lo, s0, vcc_lo
	v_and_or_b32 v15, 0x8000, v8, v15
	v_add_co_ci_u32_e32 v3, vcc_lo, 0, v6, vcc_lo
	v_cmp_ne_u32_e32 vcc_lo, 0, v9
	v_lshrrev_b32_e32 v21, v17, v16
	v_mul_f16_sdwa v9, v44, v19 dst_sel:DWORD dst_unused:UNUSED_PAD src0_sel:WORD_1 src1_sel:DWORD
	v_and_b32_e32 v15, 0xffff, v15
	v_cndmask_b32_e64 v6, 0, 1, vcc_lo
	v_cmp_gt_i32_e32 vcc_lo, 31, v13
	v_lshlrev_b32_e32 v8, v17, v21
	v_fmac_f16_e32 v9, v44, v11
	v_lshl_or_b32 v6, v6, 9, 0x7c00
	v_cndmask_b32_e32 v3, 0x7c00, v3, vcc_lo
	v_cmp_eq_u32_e32 vcc_lo, 0x40f, v13
	v_cvt_f32_f16_e32 v9, v9
	v_add_nc_u32_e32 v13, 0xfffffc10, v20
	v_cndmask_b32_e32 v3, v3, v6, vcc_lo
	v_cmp_ne_u32_e32 vcc_lo, v8, v16
	v_and_or_b32 v1, 0x1ff, v2, v1
	v_lshrrev_b32_e32 v6, 16, v10
	v_cvt_f64_f32_e32 v[8:9], v9
	v_lshrrev_b32_e32 v16, 8, v2
	v_cndmask_b32_e64 v10, 0, 1, vcc_lo
	v_cmp_ne_u32_e32 vcc_lo, 0, v1
	v_bfe_u32 v17, v2, 20, 11
	v_and_or_b32 v3, 0x8000, v6, v3
	v_lshrrev_b32_e32 v2, 16, v2
	v_or_b32_e32 v6, v21, v10
	v_cndmask_b32_e64 v1, 0, 1, vcc_lo
	v_lshl_or_b32 v10, v13, 12, v18
	v_cmp_gt_i32_e32 vcc_lo, 1, v13
	v_lshl_or_b32 v14, v3, 16, v15
	v_and_or_b32 v16, 0xffe, v16, v1
	v_sub_nc_u32_e32 v1, 0x3f1, v17
	v_cndmask_b32_e32 v10, v10, v6, vcc_lo
	v_add_co_u32 v3, vcc_lo, v4, s7
	v_or_b32_e32 v20, 0x1000, v16
	v_med3_i32 v1, v1, 0, 13
	v_and_b32_e32 v15, 7, v10
	v_add_co_ci_u32_e32 v4, vcc_lo, s6, v5, vcc_lo
	v_mul_f64 v[5:6], v[8:9], s[4:5]
	v_lshrrev_b32_e32 v21, v1, v20
	v_cmp_lt_i32_e32 vcc_lo, 5, v15
	v_cmp_eq_u32_e64 s0, 3, v15
	v_lshrrev_b32_e32 v9, 2, v10
	v_mul_f16_sdwa v8, v44, v11 dst_sel:DWORD dst_unused:UNUSED_PAD src0_sel:WORD_1 src1_sel:DWORD
	v_lshlrev_b32_e32 v1, v1, v21
	global_store_dword v[3:4], v14, off
	s_or_b32 vcc_lo, s0, vcc_lo
	v_add_nc_u32_e32 v14, 0xfffffc10, v17
	v_add_co_ci_u32_e32 v10, vcc_lo, 0, v9, vcc_lo
	v_cmp_ne_u32_e32 vcc_lo, v1, v20
	v_fma_f16 v8, v44, v19, -v8
	ds_read2_b32 v[0:1], v0 offset0:18 offset1:135
	v_lshl_or_b32 v17, v14, 12, v16
	v_cndmask_b32_e64 v11, 0, 1, vcc_lo
	v_cmp_ne_u32_e32 vcc_lo, 0, v18
	v_cvt_f32_f16_e32 v8, v8
	v_or_b32_e32 v11, v21, v11
	v_cndmask_b32_e64 v15, 0, 1, vcc_lo
	v_cmp_gt_i32_e32 vcc_lo, 31, v13
	v_cvt_f64_f32_e32 v[8:9], v8
	v_and_or_b32 v5, 0x1ff, v6, v5
	v_bfe_u32 v18, v6, 20, 11
	v_lshl_or_b32 v15, v15, 9, 0x7c00
	v_cndmask_b32_e32 v10, 0x7c00, v10, vcc_lo
	v_cmp_gt_i32_e32 vcc_lo, 1, v14
	s_waitcnt lgkmcnt(0)
	v_lshrrev_b32_e32 v19, 16, v0
	v_cndmask_b32_e32 v11, v17, v11, vcc_lo
	v_cmp_ne_u32_e32 vcc_lo, 0, v5
	v_lshrrev_b32_e32 v17, 8, v6
	v_lshrrev_b32_e32 v6, 16, v6
	v_cndmask_b32_e64 v5, 0, 1, vcc_lo
	v_cmp_eq_u32_e32 vcc_lo, 0x40f, v13
	v_and_b32_e32 v13, 7, v11
	v_cndmask_b32_e32 v10, v10, v15, vcc_lo
	v_and_or_b32 v15, 0xffe, v17, v5
	v_lshrrev_b32_e32 v5, 16, v7
	v_sub_nc_u32_e32 v17, 0x3f1, v18
	v_cmp_lt_i32_e32 vcc_lo, 5, v13
	v_cmp_eq_u32_e64 s0, 3, v13
	v_mul_f64 v[7:8], v[8:9], s[4:5]
	v_and_or_b32 v5, 0x8000, v5, v10
	v_lshrrev_b32_e32 v10, 2, v11
	v_or_b32_e32 v20, 0x1000, v15
	v_med3_i32 v9, v17, 0, 13
	v_mul_f16_sdwa v17, v43, v19 dst_sel:DWORD dst_unused:UNUSED_PAD src0_sel:WORD_1 src1_sel:DWORD
	s_or_b32 vcc_lo, s0, vcc_lo
	v_and_b32_e32 v5, 0xffff, v5
	v_add_co_ci_u32_e32 v10, vcc_lo, 0, v10, vcc_lo
	v_lshrrev_b32_e32 v11, v9, v20
	v_fmac_f16_e32 v17, v43, v0
	v_cmp_ne_u32_e32 vcc_lo, 0, v16
	v_mul_f16_sdwa v0, v43, v0 dst_sel:DWORD dst_unused:UNUSED_PAD src0_sel:WORD_1 src1_sel:DWORD
	v_cvt_f32_f16_e32 v16, v17
	v_cndmask_b32_e64 v13, 0, 1, vcc_lo
	v_lshlrev_b32_e32 v17, v9, v11
	v_cmp_gt_i32_e32 vcc_lo, 31, v14
	v_fma_f16 v0, v43, v19, -v0
	v_lshl_or_b32 v13, v13, 9, 0x7c00
	v_and_or_b32 v7, 0x1ff, v8, v7
	v_cndmask_b32_e32 v21, 0x7c00, v10, vcc_lo
	v_cmp_ne_u32_e32 vcc_lo, v17, v20
	v_cvt_f64_f32_e32 v[9:10], v16
	v_add_nc_u32_e32 v17, 0xfffffc10, v18
	v_bfe_u32 v18, v8, 20, 11
	v_cvt_f32_f16_e32 v0, v0
	v_cndmask_b32_e64 v16, 0, 1, vcc_lo
	v_cmp_eq_u32_e32 vcc_lo, 0x40f, v14
	v_lshl_or_b32 v14, v17, 12, v15
	v_or_b32_e32 v11, v11, v16
	v_cndmask_b32_e32 v13, v21, v13, vcc_lo
	v_cmp_ne_u32_e32 vcc_lo, 0, v7
	v_lshrrev_b32_e32 v16, 8, v8
	v_lshrrev_b32_e32 v8, 16, v8
	v_and_or_b32 v2, 0x8000, v2, v13
	v_cndmask_b32_e64 v7, 0, 1, vcc_lo
	v_cmp_gt_i32_e32 vcc_lo, 1, v17
	v_lshl_or_b32 v20, v2, 16, v5
	v_add_co_u32 v2, s1, v3, s3
	v_cndmask_b32_e32 v11, v14, v11, vcc_lo
	v_and_or_b32 v14, 0xffe, v16, v7
	v_sub_nc_u32_e32 v7, 0x3f1, v18
	v_mul_f64 v[9:10], v[9:10], s[4:5]
	v_add_co_ci_u32_e64 v3, s1, s2, v4, s1
	v_and_b32_e32 v13, 7, v11
	v_or_b32_e32 v16, 0x1000, v14
	v_med3_i32 v7, v7, 0, 13
	v_lshrrev_b32_e32 v4, 2, v11
	v_cmp_lt_i32_e32 vcc_lo, 5, v13
	v_cmp_eq_u32_e64 s0, 3, v13
	v_lshrrev_b32_e32 v13, v7, v16
	s_or_b32 vcc_lo, s0, vcc_lo
	v_lshlrev_b32_e32 v5, v7, v13
	v_add_co_ci_u32_e32 v7, vcc_lo, 0, v4, vcc_lo
	v_cmp_ne_u32_e32 vcc_lo, v5, v16
	v_cvt_f64_f32_e32 v[4:5], v0
	v_and_or_b32 v9, 0x1ff, v10, v9
	v_add_nc_u32_e32 v0, 0xfffffc10, v18
	v_lshrrev_b32_e32 v16, 8, v10
	v_cndmask_b32_e64 v11, 0, 1, vcc_lo
	v_cmp_gt_i32_e32 vcc_lo, 31, v17
	v_bfe_u32 v18, v10, 20, 11
	v_or_b32_e32 v11, v13, v11
	v_cndmask_b32_e32 v7, 0x7c00, v7, vcc_lo
	v_cmp_ne_u32_e32 vcc_lo, 0, v9
	v_lshl_or_b32 v13, v0, 12, v14
	v_cndmask_b32_e64 v9, 0, 1, vcc_lo
	v_cmp_ne_u32_e32 vcc_lo, 0, v15
	v_and_or_b32 v9, 0xffe, v16, v9
	v_cndmask_b32_e64 v15, 0, 1, vcc_lo
	v_cmp_gt_i32_e32 vcc_lo, 1, v0
	v_lshrrev_b32_e32 v16, 16, v12
	v_mul_f64 v[4:5], v[4:5], s[4:5]
	v_or_b32_e32 v21, 0x1000, v9
	v_lshl_or_b32 v15, v15, 9, 0x7c00
	v_cndmask_b32_e32 v11, v13, v11, vcc_lo
	v_sub_nc_u32_e32 v13, 0x3f1, v18
	v_cmp_eq_u32_e32 vcc_lo, 0x40f, v17
	v_mul_f16_sdwa v22, v42, v16 dst_sel:DWORD dst_unused:UNUSED_PAD src0_sel:WORD_1 src1_sel:DWORD
	v_add_nc_u32_e32 v18, 0xfffffc10, v18
	v_and_b32_e32 v19, 7, v11
	v_med3_i32 v13, v13, 0, 13
	v_cndmask_b32_e32 v7, v7, v15, vcc_lo
	v_fmac_f16_e32 v22, v42, v12
	v_cmp_lt_i32_e32 vcc_lo, 5, v19
	v_lshrrev_b32_e32 v15, v13, v21
	v_cmp_eq_u32_e64 s0, 3, v19
	v_and_or_b32 v17, 0x8000, v6, v7
	v_lshrrev_b32_e32 v6, 2, v11
	v_cvt_f32_f16_e32 v11, v22
	v_lshlrev_b32_e32 v7, v13, v15
	s_or_b32 vcc_lo, s0, vcc_lo
	v_add_co_ci_u32_e32 v13, vcc_lo, 0, v6, vcc_lo
	v_cmp_ne_u32_e32 vcc_lo, v7, v21
	v_cvt_f64_f32_e32 v[6:7], v11
	v_and_or_b32 v4, 0x1ff, v5, v4
	v_cndmask_b32_e64 v19, 0, 1, vcc_lo
	v_cmp_ne_u32_e32 vcc_lo, 0, v14
	v_or_b32_e32 v14, v15, v19
	v_cndmask_b32_e64 v11, 0, 1, vcc_lo
	v_cmp_gt_i32_e32 vcc_lo, 31, v0
	v_lshl_or_b32 v15, v18, 12, v9
	v_bfe_u32 v19, v5, 20, 11
	v_lshl_or_b32 v11, v11, 9, 0x7c00
	v_cndmask_b32_e32 v13, 0x7c00, v13, vcc_lo
	v_cmp_gt_i32_e32 vcc_lo, 1, v18
	v_cndmask_b32_e32 v14, v15, v14, vcc_lo
	v_cmp_ne_u32_e32 vcc_lo, 0, v4
	v_lshrrev_b32_e32 v15, 8, v5
	v_mul_f64 v[6:7], v[6:7], s[4:5]
	v_and_b32_e32 v21, 7, v14
	v_cndmask_b32_e64 v4, 0, 1, vcc_lo
	v_cmp_eq_u32_e32 vcc_lo, 0x40f, v0
	v_cmp_eq_u32_e64 s0, 3, v21
	v_and_or_b32 v4, 0xffe, v15, v4
	v_cndmask_b32_e32 v0, v13, v11, vcc_lo
	v_sub_nc_u32_e32 v11, 0x3f1, v19
	v_cmp_lt_i32_e32 vcc_lo, 5, v21
	v_or_b32_e32 v13, 0x1000, v4
	v_and_or_b32 v0, 0x8000, v8, v0
	v_lshrrev_b32_e32 v8, 2, v14
	v_med3_i32 v11, v11, 0, 13
	s_or_b32 vcc_lo, s0, vcc_lo
	v_and_b32_e32 v14, 0xffff, v17
	v_add_nc_u32_e32 v17, 0xfffffc10, v19
	v_add_co_ci_u32_e32 v8, vcc_lo, 0, v8, vcc_lo
	v_lshrrev_b32_e32 v15, v11, v13
	v_cmp_ne_u32_e32 vcc_lo, 0, v9
	v_lshl_or_b32 v14, v0, 16, v14
	v_and_or_b32 v6, 0x1ff, v7, v6
	v_lshlrev_b32_e32 v0, v11, v15
	v_cndmask_b32_e64 v9, 0, 1, vcc_lo
	v_cmp_gt_i32_e32 vcc_lo, 31, v18
	v_mul_f16_sdwa v11, v42, v12 dst_sel:DWORD dst_unused:UNUSED_PAD src0_sel:WORD_1 src1_sel:DWORD
	v_lshl_or_b32 v9, v9, 9, 0x7c00
	v_cndmask_b32_e32 v8, 0x7c00, v8, vcc_lo
	v_cmp_ne_u32_e32 vcc_lo, v0, v13
	v_fma_f16 v11, v42, v16, -v11
	v_lshl_or_b32 v13, v17, 12, v4
	v_lshrrev_b32_e32 v16, 16, v1
	v_cndmask_b32_e64 v0, 0, 1, vcc_lo
	v_cmp_eq_u32_e32 vcc_lo, 0x40f, v18
	v_mul_f16_sdwa v22, v41, v16 dst_sel:DWORD dst_unused:UNUSED_PAD src0_sel:WORD_1 src1_sel:DWORD
	v_or_b32_e32 v0, v15, v0
	v_cndmask_b32_e32 v12, v8, v9, vcc_lo
	v_cmp_ne_u32_e32 vcc_lo, 0, v6
	v_cvt_f32_f16_e32 v8, v11
	v_lshrrev_b32_e32 v11, 8, v7
	v_bfe_u32 v15, v7, 20, 11
	v_fmac_f16_e32 v22, v41, v1
	v_cndmask_b32_e64 v6, 0, 1, vcc_lo
	v_cmp_gt_i32_e32 vcc_lo, 1, v17
	v_cvt_f64_f32_e32 v[8:9], v8
	v_mul_f16_sdwa v1, v41, v1 dst_sel:DWORD dst_unused:UNUSED_PAD src0_sel:WORD_1 src1_sel:DWORD
	v_lshrrev_b32_e32 v7, 16, v7
	v_and_or_b32 v6, 0xffe, v11, v6
	v_sub_nc_u32_e32 v11, 0x3f1, v15
	v_cndmask_b32_e32 v0, v13, v0, vcc_lo
	v_lshrrev_b32_e32 v13, 16, v10
	v_add_co_u32 v10, vcc_lo, v2, s7
	v_or_b32_e32 v19, 0x1000, v6
	v_med3_i32 v21, v11, 0, 13
	v_and_b32_e32 v18, 7, v0
	v_add_co_ci_u32_e32 v11, vcc_lo, s6, v3, vcc_lo
	v_lshrrev_b32_e32 v0, 2, v0
	v_lshrrev_b32_e32 v24, v21, v19
	v_cmp_lt_i32_e32 vcc_lo, 5, v18
	v_cmp_eq_u32_e64 s0, 3, v18
	v_and_or_b32 v23, 0x8000, v13, v12
	v_cvt_f32_f16_e32 v12, v22
	v_lshlrev_b32_e32 v18, v21, v24
	v_add_nc_u32_e32 v15, 0xfffffc10, v15
	s_or_b32 vcc_lo, s0, vcc_lo
	v_mul_f64 v[8:9], v[8:9], s[4:5]
	v_add_co_ci_u32_e32 v0, vcc_lo, 0, v0, vcc_lo
	v_cmp_ne_u32_e32 vcc_lo, v18, v19
	v_cvt_f64_f32_e32 v[12:13], v12
	v_lshl_or_b32 v19, v15, 12, v6
	v_fma_f16 v1, v41, v16, -v1
	v_cndmask_b32_e64 v18, 0, 1, vcc_lo
	v_cmp_ne_u32_e32 vcc_lo, 0, v4
	v_cvt_f32_f16_e32 v1, v1
	v_or_b32_e32 v18, v24, v18
	v_cndmask_b32_e64 v4, 0, 1, vcc_lo
	v_cmp_gt_i32_e32 vcc_lo, 31, v17
	v_lshl_or_b32 v4, v4, 9, 0x7c00
	v_cndmask_b32_e32 v0, 0x7c00, v0, vcc_lo
	v_cmp_gt_i32_e32 vcc_lo, 1, v15
	v_and_or_b32 v8, 0x1ff, v9, v8
	v_cndmask_b32_e32 v16, v19, v18, vcc_lo
	v_cmp_eq_u32_e32 vcc_lo, 0x40f, v17
	v_lshrrev_b32_e32 v18, 16, v5
	v_and_b32_e32 v19, 7, v16
	v_cndmask_b32_e32 v17, v0, v4, vcc_lo
	v_mul_f64 v[4:5], v[12:13], s[4:5]
	v_cvt_f64_f32_e32 v[0:1], v1
	v_cmp_ne_u32_e32 vcc_lo, 0, v8
	v_lshrrev_b32_e32 v12, 8, v9
	v_bfe_u32 v13, v9, 20, 11
	v_cmp_eq_u32_e64 s0, 3, v19
	v_lshrrev_b32_e32 v16, 2, v16
	v_cndmask_b32_e64 v8, 0, 1, vcc_lo
	v_cmp_lt_i32_e32 vcc_lo, 5, v19
	v_and_or_b32 v17, 0x8000, v18, v17
	v_and_b32_e32 v18, 0xffff, v23
	v_lshrrev_b32_e32 v9, 16, v9
	v_and_or_b32 v8, 0xffe, v12, v8
	v_sub_nc_u32_e32 v12, 0x3f1, v13
	s_or_b32 vcc_lo, s0, vcc_lo
	v_lshl_or_b32 v17, v17, 16, v18
	v_add_co_ci_u32_e32 v16, vcc_lo, 0, v16, vcc_lo
	v_or_b32_e32 v18, 0x1000, v8
	v_med3_i32 v12, v12, 0, 13
	v_cmp_ne_u32_e32 vcc_lo, 0, v6
	v_add_nc_u32_e32 v13, 0xfffffc10, v13
	v_and_or_b32 v4, 0x1ff, v5, v4
	v_mul_f64 v[0:1], v[0:1], s[4:5]
	v_lshrrev_b32_e32 v19, v12, v18
	v_cndmask_b32_e64 v6, 0, 1, vcc_lo
	v_cmp_gt_i32_e32 vcc_lo, 31, v15
	v_lshrrev_b32_e32 v21, 8, v5
	v_bfe_u32 v22, v5, 20, 11
	v_lshlrev_b32_e32 v12, v12, v19
	v_lshl_or_b32 v6, v6, 9, 0x7c00
	v_cndmask_b32_e32 v16, 0x7c00, v16, vcc_lo
	v_cmp_ne_u32_e32 vcc_lo, 0, v4
	v_lshrrev_b32_e32 v5, 16, v5
	v_cndmask_b32_e64 v4, 0, 1, vcc_lo
	v_cmp_ne_u32_e32 vcc_lo, v12, v18
	v_sub_nc_u32_e32 v18, 0x3f1, v22
	v_and_or_b32 v4, 0xffe, v21, v4
	v_cndmask_b32_e64 v12, 0, 1, vcc_lo
	v_cmp_eq_u32_e32 vcc_lo, 0x40f, v15
	v_lshl_or_b32 v15, v13, 12, v8
	v_med3_i32 v18, v18, 0, 13
	v_and_or_b32 v0, 0x1ff, v1, v0
	v_or_b32_e32 v12, v19, v12
	v_cndmask_b32_e32 v6, v16, v6, vcc_lo
	v_or_b32_e32 v16, 0x1000, v4
	v_cmp_gt_i32_e32 vcc_lo, 1, v13
	v_lshrrev_b32_e32 v19, 8, v1
	v_bfe_u32 v21, v1, 20, 11
	v_and_or_b32 v6, 0x8000, v7, v6
	v_cndmask_b32_e32 v12, v15, v12, vcc_lo
	v_lshrrev_b32_e32 v15, v18, v16
	v_cmp_ne_u32_e32 vcc_lo, 0, v0
	v_sub_nc_u32_e32 v7, 0x3f1, v21
	v_and_b32_e32 v6, 0xffff, v6
	v_and_b32_e32 v23, 7, v12
	v_lshlrev_b32_e32 v18, v18, v15
	v_cndmask_b32_e64 v0, 0, 1, vcc_lo
	v_lshrrev_b32_e32 v12, 2, v12
	v_med3_i32 v7, v7, 0, 13
	v_cmp_lt_i32_e32 vcc_lo, 5, v23
	v_cmp_ne_u32_e64 s0, v18, v16
	v_and_or_b32 v0, 0xffe, v19, v0
	v_add_nc_u32_e32 v19, 0xfffffc10, v22
	v_cndmask_b32_e64 v16, 0, 1, s0
	v_cmp_eq_u32_e64 s0, 3, v23
	v_or_b32_e32 v18, 0x1000, v0
	v_lshl_or_b32 v22, v19, 12, v4
	v_or_b32_e32 v15, v15, v16
	s_or_b32 vcc_lo, s0, vcc_lo
	v_lshrrev_b32_e32 v16, v7, v18
	v_add_co_ci_u32_e32 v12, vcc_lo, 0, v12, vcc_lo
	v_cmp_gt_i32_e32 vcc_lo, 1, v19
	v_lshlrev_b32_e32 v7, v7, v16
	v_cndmask_b32_e32 v15, v22, v15, vcc_lo
	v_cmp_ne_u32_e32 vcc_lo, 0, v8
	v_cndmask_b32_e64 v8, 0, 1, vcc_lo
	v_cmp_ne_u32_e32 vcc_lo, v7, v18
	v_add_nc_u32_e32 v18, 0xfffffc10, v21
	v_and_b32_e32 v21, 7, v15
	v_lshl_or_b32 v8, v8, 9, 0x7c00
	v_cndmask_b32_e64 v7, 0, 1, vcc_lo
	v_cmp_gt_i32_e32 vcc_lo, 31, v13
	v_cmp_gt_i32_e64 s1, 1, v18
	v_cmp_eq_u32_e64 s0, 3, v21
	v_or_b32_e32 v7, v16, v7
	v_lshl_or_b32 v16, v18, 12, v0
	v_cndmask_b32_e32 v12, 0x7c00, v12, vcc_lo
	v_cmp_lt_i32_e32 vcc_lo, 5, v21
	v_cndmask_b32_e64 v7, v16, v7, s1
	v_cmp_eq_u32_e64 s1, 0x40f, v13
	s_or_b32 vcc_lo, s0, vcc_lo
	v_and_b32_e32 v13, 7, v7
	v_cndmask_b32_e64 v8, v12, v8, s1
	v_lshrrev_b32_e32 v12, 2, v15
	v_lshrrev_b32_e32 v7, 2, v7
	v_cmp_gt_i32_e64 s1, 31, v19
	v_cmp_eq_u32_e64 s0, 3, v13
	v_and_or_b32 v8, 0x8000, v9, v8
	v_add_co_ci_u32_e32 v12, vcc_lo, 0, v12, vcc_lo
	v_cmp_ne_u32_e32 vcc_lo, 0, v4
	v_lshl_or_b32 v8, v8, 16, v6
	v_cndmask_b32_e64 v12, 0x7c00, v12, s1
	v_cndmask_b32_e64 v4, 0, 1, vcc_lo
	v_cmp_lt_i32_e32 vcc_lo, 5, v13
	v_lshl_or_b32 v4, v4, 9, 0x7c00
	s_or_b32 vcc_lo, s0, vcc_lo
	v_add_co_ci_u32_e32 v7, vcc_lo, 0, v7, vcc_lo
	v_cmp_ne_u32_e32 vcc_lo, 0, v0
	v_cndmask_b32_e64 v0, 0, 1, vcc_lo
	v_cmp_eq_u32_e32 vcc_lo, 0x40f, v19
	v_lshl_or_b32 v0, v0, 9, 0x7c00
	v_cndmask_b32_e32 v4, v12, v4, vcc_lo
	v_cmp_gt_i32_e32 vcc_lo, 31, v18
	v_and_or_b32 v4, 0x8000, v5, v4
	v_cndmask_b32_e32 v7, 0x7c00, v7, vcc_lo
	v_cmp_eq_u32_e32 vcc_lo, 0x40f, v18
	v_cndmask_b32_e32 v5, v7, v0, vcc_lo
	v_lshrrev_b32_e32 v7, 16, v1
	v_add_co_u32 v0, vcc_lo, v10, s3
	v_add_co_ci_u32_e32 v1, vcc_lo, s2, v11, vcc_lo
	v_and_or_b32 v6, 0x8000, v7, v5
	v_and_b32_e32 v7, 0xffff, v4
	v_add_co_u32 v4, vcc_lo, v0, s7
	v_add_co_ci_u32_e32 v5, vcc_lo, s6, v1, vcc_lo
	v_lshl_or_b32 v9, v6, 16, v7
	v_add_co_u32 v6, vcc_lo, v4, s3
	v_add_co_ci_u32_e32 v7, vcc_lo, s2, v5, vcc_lo
	global_store_dword v[2:3], v20, off
	global_store_dword v[10:11], v14, off
	global_store_dword v[0:1], v17, off
	global_store_dword v[4:5], v8, off
	global_store_dword v[6:7], v9, off
.LBB0_10:
	s_endpgm
	.section	.rodata,"a",@progbits
	.p2align	6, 0x0
	.amdhsa_kernel bluestein_single_fwd_len1404_dim1_half_op_CI_CI
		.amdhsa_group_segment_fixed_size 5616
		.amdhsa_private_segment_fixed_size 0
		.amdhsa_kernarg_size 104
		.amdhsa_user_sgpr_count 6
		.amdhsa_user_sgpr_private_segment_buffer 1
		.amdhsa_user_sgpr_dispatch_ptr 0
		.amdhsa_user_sgpr_queue_ptr 0
		.amdhsa_user_sgpr_kernarg_segment_ptr 1
		.amdhsa_user_sgpr_dispatch_id 0
		.amdhsa_user_sgpr_flat_scratch_init 0
		.amdhsa_user_sgpr_private_segment_size 0
		.amdhsa_wavefront_size32 1
		.amdhsa_uses_dynamic_stack 0
		.amdhsa_system_sgpr_private_segment_wavefront_offset 0
		.amdhsa_system_sgpr_workgroup_id_x 1
		.amdhsa_system_sgpr_workgroup_id_y 0
		.amdhsa_system_sgpr_workgroup_id_z 0
		.amdhsa_system_sgpr_workgroup_info 0
		.amdhsa_system_vgpr_workitem_id 0
		.amdhsa_next_free_vgpr 201
		.amdhsa_next_free_sgpr 20
		.amdhsa_reserve_vcc 1
		.amdhsa_reserve_flat_scratch 0
		.amdhsa_float_round_mode_32 0
		.amdhsa_float_round_mode_16_64 0
		.amdhsa_float_denorm_mode_32 3
		.amdhsa_float_denorm_mode_16_64 3
		.amdhsa_dx10_clamp 1
		.amdhsa_ieee_mode 1
		.amdhsa_fp16_overflow 0
		.amdhsa_workgroup_processor_mode 1
		.amdhsa_memory_ordered 1
		.amdhsa_forward_progress 0
		.amdhsa_shared_vgpr_count 0
		.amdhsa_exception_fp_ieee_invalid_op 0
		.amdhsa_exception_fp_denorm_src 0
		.amdhsa_exception_fp_ieee_div_zero 0
		.amdhsa_exception_fp_ieee_overflow 0
		.amdhsa_exception_fp_ieee_underflow 0
		.amdhsa_exception_fp_ieee_inexact 0
		.amdhsa_exception_int_div_zero 0
	.end_amdhsa_kernel
	.text
.Lfunc_end0:
	.size	bluestein_single_fwd_len1404_dim1_half_op_CI_CI, .Lfunc_end0-bluestein_single_fwd_len1404_dim1_half_op_CI_CI
                                        ; -- End function
	.section	.AMDGPU.csdata,"",@progbits
; Kernel info:
; codeLenInByte = 23188
; NumSgprs: 22
; NumVgprs: 201
; ScratchSize: 0
; MemoryBound: 0
; FloatMode: 240
; IeeeMode: 1
; LDSByteSize: 5616 bytes/workgroup (compile time only)
; SGPRBlocks: 2
; VGPRBlocks: 25
; NumSGPRsForWavesPerEU: 22
; NumVGPRsForWavesPerEU: 201
; Occupancy: 4
; WaveLimiterHint : 1
; COMPUTE_PGM_RSRC2:SCRATCH_EN: 0
; COMPUTE_PGM_RSRC2:USER_SGPR: 6
; COMPUTE_PGM_RSRC2:TRAP_HANDLER: 0
; COMPUTE_PGM_RSRC2:TGID_X_EN: 1
; COMPUTE_PGM_RSRC2:TGID_Y_EN: 0
; COMPUTE_PGM_RSRC2:TGID_Z_EN: 0
; COMPUTE_PGM_RSRC2:TIDIG_COMP_CNT: 0
	.text
	.p2alignl 6, 3214868480
	.fill 48, 4, 3214868480
	.type	__hip_cuid_a5bed8e3037f962a,@object ; @__hip_cuid_a5bed8e3037f962a
	.section	.bss,"aw",@nobits
	.globl	__hip_cuid_a5bed8e3037f962a
__hip_cuid_a5bed8e3037f962a:
	.byte	0                               ; 0x0
	.size	__hip_cuid_a5bed8e3037f962a, 1

	.ident	"AMD clang version 19.0.0git (https://github.com/RadeonOpenCompute/llvm-project roc-6.4.0 25133 c7fe45cf4b819c5991fe208aaa96edf142730f1d)"
	.section	".note.GNU-stack","",@progbits
	.addrsig
	.addrsig_sym __hip_cuid_a5bed8e3037f962a
	.amdgpu_metadata
---
amdhsa.kernels:
  - .args:
      - .actual_access:  read_only
        .address_space:  global
        .offset:         0
        .size:           8
        .value_kind:     global_buffer
      - .actual_access:  read_only
        .address_space:  global
        .offset:         8
        .size:           8
        .value_kind:     global_buffer
      - .actual_access:  read_only
        .address_space:  global
        .offset:         16
        .size:           8
        .value_kind:     global_buffer
      - .actual_access:  read_only
        .address_space:  global
        .offset:         24
        .size:           8
        .value_kind:     global_buffer
      - .actual_access:  read_only
        .address_space:  global
        .offset:         32
        .size:           8
        .value_kind:     global_buffer
      - .offset:         40
        .size:           8
        .value_kind:     by_value
      - .address_space:  global
        .offset:         48
        .size:           8
        .value_kind:     global_buffer
      - .address_space:  global
        .offset:         56
        .size:           8
        .value_kind:     global_buffer
      - .address_space:  global
        .offset:         64
        .size:           8
        .value_kind:     global_buffer
      - .address_space:  global
        .offset:         72
        .size:           8
        .value_kind:     global_buffer
      - .offset:         80
        .size:           4
        .value_kind:     by_value
      - .address_space:  global
        .offset:         88
        .size:           8
        .value_kind:     global_buffer
      - .address_space:  global
        .offset:         96
        .size:           8
        .value_kind:     global_buffer
    .group_segment_fixed_size: 5616
    .kernarg_segment_align: 8
    .kernarg_segment_size: 104
    .language:       OpenCL C
    .language_version:
      - 2
      - 0
    .max_flat_workgroup_size: 117
    .name:           bluestein_single_fwd_len1404_dim1_half_op_CI_CI
    .private_segment_fixed_size: 0
    .sgpr_count:     22
    .sgpr_spill_count: 0
    .symbol:         bluestein_single_fwd_len1404_dim1_half_op_CI_CI.kd
    .uniform_work_group_size: 1
    .uses_dynamic_stack: false
    .vgpr_count:     201
    .vgpr_spill_count: 0
    .wavefront_size: 32
    .workgroup_processor_mode: 1
amdhsa.target:   amdgcn-amd-amdhsa--gfx1030
amdhsa.version:
  - 1
  - 2
...

	.end_amdgpu_metadata
